;; amdgpu-corpus repo=ROCm/rocFFT kind=compiled arch=gfx950 opt=O3
	.text
	.amdgcn_target "amdgcn-amd-amdhsa--gfx950"
	.amdhsa_code_object_version 6
	.protected	bluestein_single_fwd_len121_dim1_sp_op_CI_CI ; -- Begin function bluestein_single_fwd_len121_dim1_sp_op_CI_CI
	.globl	bluestein_single_fwd_len121_dim1_sp_op_CI_CI
	.p2align	8
	.type	bluestein_single_fwd_len121_dim1_sp_op_CI_CI,@function
bluestein_single_fwd_len121_dim1_sp_op_CI_CI: ; @bluestein_single_fwd_len121_dim1_sp_op_CI_CI
; %bb.0:
	s_load_dwordx4 s[16:19], s[0:1], 0x28
	v_mul_u32_u24_e32 v1, 0x1746, v0
	v_lshrrev_b32_e32 v2, 16, v1
	v_mad_u64_u32 v[30:31], s[2:3], s2, 11, v[2:3]
	v_mov_b32_e32 v31, 0
	s_waitcnt lgkmcnt(0)
	v_cmp_gt_u64_e32 vcc, s[16:17], v[30:31]
	s_and_saveexec_b64 s[2:3], vcc
	s_cbranch_execz .LBB0_2
; %bb.1:
	s_load_dwordx4 s[4:7], s[0:1], 0x18
	s_load_dwordx4 s[8:11], s[0:1], 0x0
	v_mul_lo_u16_e32 v1, 11, v2
	v_sub_u16_e32 v73, v0, v1
	v_mov_b32_e32 v4, s18
	s_waitcnt lgkmcnt(0)
	s_load_dwordx4 s[12:15], s[4:5], 0x0
	v_mov_b32_e32 v5, s19
	v_mov_b32_e32 v31, 0x58
	v_lshlrev_b32_e32 v60, 3, v73
	s_mov_b32 s18, 0xbf68dda4
	s_waitcnt lgkmcnt(0)
	v_mad_u64_u32 v[0:1], s[2:3], s14, v30, 0
	v_mov_b32_e32 v2, v1
	v_mad_u64_u32 v[2:3], s[2:3], s15, v30, v[2:3]
	v_mov_b32_e32 v1, v2
	v_mad_u64_u32 v[2:3], s[2:3], s12, v73, 0
	v_mov_b32_e32 v6, v3
	v_mad_u64_u32 v[6:7], s[2:3], s13, v73, v[6:7]
	v_mov_b32_e32 v3, v6
	v_lshl_add_u64 v[0:1], v[0:1], 3, v[4:5]
	v_lshl_add_u64 v[0:1], v[2:3], 3, v[0:1]
	global_load_dwordx2 v[2:3], v[0:1], off
	v_mad_u64_u32 v[0:1], s[2:3], s12, v31, v[0:1]
	s_mul_i32 s4, s13, 0x58
	v_add_u32_e32 v1, s4, v1
	global_load_dwordx2 v[4:5], v[0:1], off
	global_load_dwordx2 v[46:47], v60, s[8:9]
	v_mad_u64_u32 v[0:1], s[2:3], s12, v31, v[0:1]
	v_add_u32_e32 v1, s4, v1
	v_mad_u64_u32 v[6:7], s[2:3], s12, v31, v[0:1]
	v_add_u32_e32 v7, s4, v7
	global_load_dwordx2 v[44:45], v60, s[8:9] offset:88
	global_load_dwordx2 v[42:43], v60, s[8:9] offset:176
	;; [unrolled: 1-line block ×3, first 2 shown]
	global_load_dwordx2 v[8:9], v[0:1], off
	v_mad_u64_u32 v[0:1], s[2:3], s12, v31, v[6:7]
	v_add_u32_e32 v1, s4, v1
	global_load_dwordx2 v[10:11], v[6:7], off
	global_load_dwordx2 v[12:13], v[0:1], off
	v_mad_u64_u32 v[0:1], s[2:3], s12, v31, v[0:1]
	v_add_u32_e32 v1, s4, v1
	global_load_dwordx2 v[40:41], v60, s[8:9] offset:352
	global_load_dwordx2 v[6:7], v[0:1], off
	v_mad_u64_u32 v[0:1], s[2:3], s12, v31, v[0:1]
	v_add_u32_e32 v1, s4, v1
	global_load_dwordx2 v[14:15], v[0:1], off
	v_mad_u64_u32 v[0:1], s[2:3], s12, v31, v[0:1]
	v_add_u32_e32 v1, s4, v1
	global_load_dwordx2 v[38:39], v60, s[8:9] offset:440
	global_load_dwordx2 v[34:35], v60, s[8:9] offset:528
	global_load_dwordx2 v[16:17], v[0:1], off
	global_load_dwordx2 v[32:33], v60, s[8:9] offset:616
	v_mad_u64_u32 v[0:1], s[2:3], s12, v31, v[0:1]
	v_add_u32_e32 v1, s4, v1
	global_load_dwordx2 v[18:19], v[0:1], off
	global_load_dwordx2 v[28:29], v60, s[8:9] offset:704
	v_mad_u64_u32 v[0:1], s[2:3], s12, v31, v[0:1]
	v_add_u32_e32 v1, s4, v1
	;; [unrolled: 4-line block ×3, first 2 shown]
	global_load_dwordx2 v[24:25], v60, s[8:9] offset:880
	global_load_dwordx2 v[22:23], v[0:1], off
	s_mov_b32 s2, 0xba2e8ba3
	v_mul_hi_u32 v0, v30, s2
	v_lshrrev_b32_e32 v0, 3, v0
	v_mul_lo_u32 v0, v0, 11
	v_sub_u32_e32 v0, v30, v0
	v_mul_u32_u24_e32 v0, 0x79, v0
	v_lshlrev_b32_e32 v61, 3, v0
	v_add_u32_e32 v72, v60, v61
	s_load_dwordx4 s[4:7], s[6:7], 0x0
	s_mov_b32 s2, 0xbf0a6770
	s_mov_b32 s3, 0x3f575c64
	;; [unrolled: 1-line block ×32, first 2 shown]
	s_waitcnt vmcnt(19)
	v_mul_f32_e32 v0, v3, v47
	v_mul_f32_e32 v1, v2, v47
	v_fmac_f32_e32 v0, v2, v46
	v_fma_f32 v1, v3, v46, -v1
	s_mov_b32 s42, s19
	s_mov_b32 s43, s22
	;; [unrolled: 1-line block ×3, first 2 shown]
	s_waitcnt vmcnt(18)
	v_mul_f32_e32 v2, v5, v45
	v_mul_f32_e32 v3, v4, v45
	v_fmac_f32_e32 v2, v4, v44
	v_fma_f32 v3, v5, v44, -v3
	ds_write2_b64 v72, v[0:1], v[2:3] offset1:11
	s_waitcnt vmcnt(15)
	v_mul_f32_e32 v0, v9, v43
	v_mul_f32_e32 v1, v8, v43
	s_waitcnt vmcnt(14)
	v_mul_f32_e32 v2, v11, v37
	v_mul_f32_e32 v3, v10, v37
	v_fmac_f32_e32 v0, v8, v42
	v_fma_f32 v1, v9, v42, -v1
	v_fmac_f32_e32 v2, v10, v36
	v_fma_f32 v3, v11, v36, -v3
	ds_write2_b64 v72, v[0:1], v[2:3] offset0:22 offset1:33
	s_waitcnt vmcnt(12)
	v_mul_f32_e32 v0, v13, v41
	v_mul_f32_e32 v1, v12, v41
	v_fmac_f32_e32 v0, v12, v40
	s_waitcnt vmcnt(9)
	v_mul_f32_e32 v2, v7, v39
	v_mul_f32_e32 v3, v6, v39
	v_fma_f32 v1, v13, v40, -v1
	v_fmac_f32_e32 v2, v6, v38
	v_fma_f32 v3, v7, v38, -v3
	ds_write2_b64 v72, v[0:1], v[2:3] offset0:44 offset1:55
	s_waitcnt vmcnt(8)
	v_mul_f32_e32 v0, v15, v35
	v_mul_f32_e32 v1, v14, v35
	s_waitcnt vmcnt(6)
	v_mul_f32_e32 v2, v17, v33
	v_mul_f32_e32 v3, v16, v33
	v_fmac_f32_e32 v0, v14, v34
	v_fma_f32 v1, v15, v34, -v1
	v_fmac_f32_e32 v2, v16, v32
	v_fma_f32 v3, v17, v32, -v3
	ds_write2_b64 v72, v[0:1], v[2:3] offset0:66 offset1:77
	s_waitcnt vmcnt(4)
	v_mul_f32_e32 v0, v19, v29
	v_mul_f32_e32 v1, v18, v29
	s_waitcnt vmcnt(2)
	v_mul_f32_e32 v2, v21, v27
	v_mul_f32_e32 v3, v20, v27
	v_fmac_f32_e32 v0, v18, v28
	v_fma_f32 v1, v19, v28, -v1
	v_fmac_f32_e32 v2, v20, v26
	v_fma_f32 v3, v21, v26, -v3
	ds_write2_b64 v72, v[0:1], v[2:3] offset0:88 offset1:99
	s_waitcnt vmcnt(0)
	v_mul_f32_e32 v0, v23, v25
	v_mul_f32_e32 v1, v22, v25
	v_fmac_f32_e32 v0, v22, v24
	v_fma_f32 v1, v23, v24, -v1
	ds_write_b64 v72, v[0:1] offset:880
	s_waitcnt lgkmcnt(0)
	s_barrier
	ds_read2_b64 v[0:3], v72 offset1:11
	ds_read2_b64 v[4:7], v72 offset0:22 offset1:33
	ds_read2_b64 v[8:11], v72 offset0:44 offset1:55
	;; [unrolled: 1-line block ×4, first 2 shown]
	ds_read_b64 v[20:21], v72 offset:880
	s_waitcnt lgkmcnt(5)
	v_pk_add_f32 v[22:23], v[0:1], v[2:3]
	s_waitcnt lgkmcnt(0)
	v_pk_add_f32 v[22:23], v[22:23], v[4:5]
	v_pk_add_f32 v[62:63], v[18:19], v[4:5]
	;; [unrolled: 1-line block ×11, first 2 shown]
	v_pk_add_f32 v[52:53], v[10:11], v[12:13] neg_lo:[0,1] neg_hi:[0,1]
	v_pk_add_f32 v[22:23], v[22:23], v[16:17]
	v_pk_add_f32 v[16:17], v[6:7], v[16:17] neg_lo:[0,1] neg_hi:[0,1]
	v_pk_add_f32 v[22:23], v[22:23], v[18:19]
	v_pk_add_f32 v[18:19], v[4:5], v[18:19] neg_lo:[0,1] neg_hi:[0,1]
	v_pk_add_f32 v[4:5], v[2:3], v[20:21] neg_lo:[0,1] neg_hi:[0,1]
	v_mov_b32_e32 v3, v69
	v_mov_b32_e32 v69, v4
	;; [unrolled: 1-line block ×3, first 2 shown]
	v_pk_mul_f32 v[4:5], v[68:69], s[30:31]
	v_pk_add_f32 v[58:59], v[22:23], v[20:21]
	v_pk_add_f32 v[22:23], v[8:9], v[14:15] neg_lo:[0,1] neg_hi:[0,1]
	v_mov_b32_e32 v7, v63
	v_mov_b32_e32 v63, v18
	v_pk_fma_f32 v[10:11], v[2:3], s[2:3], v[4:5] neg_lo:[1,0,0] neg_hi:[1,0,0]
	v_pk_fma_f32 v[8:9], v[2:3], s[2:3], v[4:5]
	v_mov_b32_e32 v6, v19
	v_mov_b32_e32 v11, v9
	v_pk_mul_f32 v[12:13], v[62:63], s[38:39]
	v_pk_add_f32 v[14:15], v[0:1], v[10:11]
	v_pk_fma_f32 v[18:19], v[6:7], s[18:19], v[12:13] neg_lo:[1,0,0] neg_hi:[1,0,0]
	v_pk_fma_f32 v[10:11], v[6:7], s[18:19], v[12:13]
	v_mul_lo_u16_e32 v9, 11, v73
	v_mov_b32_e32 v19, v11
	v_pk_add_f32 v[20:21], v[18:19], v[14:15]
	v_mov_b32_e32 v15, v65
	v_mov_b32_e32 v65, v16
	;; [unrolled: 1-line block ×3, first 2 shown]
	v_pk_mul_f32 v[18:19], v[64:65], s[28:29]
	s_barrier
	v_pk_fma_f32 v[48:49], v[14:15], s[12:13], v[18:19] neg_lo:[1,0,0] neg_hi:[1,0,0]
	v_pk_fma_f32 v[16:17], v[14:15], s[12:13], v[18:19]
	s_nop 0
	v_mov_b32_e32 v49, v17
	v_pk_add_f32 v[50:51], v[48:49], v[20:21]
	v_mov_b32_e32 v21, v67
	v_mov_b32_e32 v67, v22
	;; [unrolled: 1-line block ×3, first 2 shown]
	v_pk_mul_f32 v[48:49], v[66:67], s[34:35]
	v_pk_mul_f32 v[78:79], v[62:63], s[34:35]
	v_pk_fma_f32 v[54:55], v[20:21], s[14:15], v[48:49] neg_lo:[1,0,0] neg_hi:[1,0,0]
	v_pk_fma_f32 v[22:23], v[20:21], s[14:15], v[48:49]
	v_pk_fma_f32 v[80:81], v[6:7], s[14:15], v[78:79] neg_lo:[1,0,0] neg_hi:[1,0,0]
	v_mov_b32_e32 v55, v23
	v_pk_add_f32 v[70:71], v[54:55], v[50:51]
	v_mov_b32_e32 v51, v57
	v_mov_b32_e32 v57, v52
	;; [unrolled: 1-line block ×3, first 2 shown]
	v_pk_mul_f32 v[54:55], v[56:57], s[36:37]
	v_pk_fma_f32 v[82:83], v[6:7], s[14:15], v[78:79]
	v_pk_fma_f32 v[74:75], v[50:51], s[16:17], v[54:55] neg_lo:[1,0,0] neg_hi:[1,0,0]
	v_pk_fma_f32 v[52:53], v[50:51], s[16:17], v[54:55]
	v_mov_b32_e32 v81, v83
	v_mov_b32_e32 v75, v53
	v_pk_add_f32 v[70:71], v[74:75], v[70:71]
	v_lshl_add_u32 v74, v9, 3, v61
	ds_write2_b64 v74, v[58:59], v[70:71] offset1:1
	v_pk_mul_f32 v[58:59], v[68:69], s[38:39]
	v_pk_mul_f32 v[100:101], v[62:63], s[46:47]
	v_pk_fma_f32 v[70:71], v[2:3], s[18:19], v[58:59] neg_lo:[1,0,0] neg_hi:[1,0,0]
	v_pk_fma_f32 v[76:77], v[2:3], s[18:19], v[58:59]
	v_pk_fma_f32 v[102:103], v[6:7], s[26:27], v[100:101] neg_lo:[1,0,0] neg_hi:[1,0,0]
	v_mov_b32_e32 v71, v77
	v_pk_add_f32 v[70:71], v[0:1], v[70:71]
	v_pk_fma_f32 v[104:105], v[6:7], s[26:27], v[100:101]
	v_pk_add_f32 v[70:71], v[80:81], v[70:71]
	v_pk_mul_f32 v[80:81], v[64:65], s[46:47]
	v_mov_b32_e32 v103, v105
	v_pk_fma_f32 v[84:85], v[14:15], s[26:27], v[80:81] neg_lo:[1,0,0] neg_hi:[1,0,0]
	v_pk_fma_f32 v[86:87], v[14:15], s[26:27], v[80:81]
	v_pk_mul_f32 v[118:119], v[62:63], s[44:45]
	v_mov_b32_e32 v85, v87
	v_pk_add_f32 v[70:71], v[84:85], v[70:71]
	v_pk_mul_f32 v[84:85], v[66:67], s[44:45]
	v_pk_fma_f32 v[120:121], v[6:7], s[24:25], v[118:119] neg_lo:[1,0,0] neg_hi:[1,0,0]
	v_pk_fma_f32 v[88:89], v[20:21], s[24:25], v[84:85] neg_lo:[1,0,0] neg_hi:[1,0,0]
	v_pk_fma_f32 v[90:91], v[20:21], s[24:25], v[84:85]
	v_pk_fma_f32 v[122:123], v[6:7], s[24:25], v[118:119]
	v_mov_b32_e32 v89, v91
	v_pk_add_f32 v[70:71], v[88:89], v[70:71]
	v_pk_mul_f32 v[88:89], v[56:57], s[40:41]
	v_mov_b32_e32 v121, v123
	v_pk_fma_f32 v[92:93], v[50:51], s[20:21], v[88:89] neg_lo:[1,0,0] neg_hi:[1,0,0]
	v_pk_fma_f32 v[94:95], v[50:51], s[20:21], v[88:89]
	v_pk_mul_f32 v[62:63], v[62:63], s[40:41]
	v_mov_b32_e32 v93, v95
	v_pk_add_f32 v[70:71], v[92:93], v[70:71]
	v_pk_mul_f32 v[92:93], v[68:69], s[28:29]
	v_pk_fma_f32 v[138:139], v[6:7], s[20:21], v[62:63] neg_lo:[1,0,0] neg_hi:[1,0,0]
	v_pk_fma_f32 v[96:97], v[2:3], s[12:13], v[92:93] neg_lo:[1,0,0] neg_hi:[1,0,0]
	v_pk_fma_f32 v[98:99], v[2:3], s[12:13], v[92:93]
	v_pk_fma_f32 v[140:141], v[6:7], s[20:21], v[62:63]
	v_mov_b32_e32 v97, v99
	v_pk_add_f32 v[96:97], v[0:1], v[96:97]
	v_mov_b32_e32 v139, v141
	v_pk_add_f32 v[96:97], v[102:103], v[96:97]
	v_pk_mul_f32 v[102:103], v[64:65], s[42:43]
	v_pk_fma_f32 v[62:63], v[6:7], s[20:21], v[62:63] neg_lo:[0,0,1] neg_hi:[0,0,1]
	v_pk_fma_f32 v[106:107], v[14:15], s[22:23], v[102:103] neg_lo:[1,0,0] neg_hi:[1,0,0]
	v_pk_fma_f32 v[108:109], v[14:15], s[22:23], v[102:103]
	v_mov_b32_e32 v141, v63
	v_mov_b32_e32 v107, v109
	v_pk_add_f32 v[96:97], v[106:107], v[96:97]
	v_pk_mul_f32 v[106:107], v[66:67], s[30:31]
	v_pk_fma_f32 v[58:59], v[2:3], s[18:19], v[58:59] neg_lo:[0,0,1] neg_hi:[0,0,1]
	v_pk_fma_f32 v[110:111], v[20:21], s[2:3], v[106:107] neg_lo:[1,0,0] neg_hi:[1,0,0]
	v_pk_fma_f32 v[112:113], v[20:21], s[2:3], v[106:107]
	v_mov_b32_e32 v77, v59
	;; [unrolled: 7-line block ×3, first 2 shown]
	v_mov_b32_e32 v115, v117
	v_pk_add_f32 v[96:97], v[114:115], v[96:97]
	ds_write2_b64 v74, v[70:71], v[96:97] offset0:2 offset1:3
	v_pk_mul_f32 v[70:71], v[68:69], s[34:35]
	v_pk_mul_f32 v[68:69], v[68:69], s[36:37]
	v_pk_fma_f32 v[96:97], v[2:3], s[14:15], v[70:71] neg_lo:[1,0,0] neg_hi:[1,0,0]
	v_pk_fma_f32 v[114:115], v[2:3], s[14:15], v[70:71]
	v_pk_fma_f32 v[136:137], v[2:3], s[16:17], v[68:69]
	v_mov_b32_e32 v97, v115
	v_pk_add_f32 v[96:97], v[0:1], v[96:97]
	v_pk_add_f32 v[58:59], v[0:1], v[76:77]
	;; [unrolled: 1-line block ×3, first 2 shown]
	v_pk_mul_f32 v[120:121], v[64:65], s[30:31]
	v_pk_mul_f32 v[64:65], v[64:65], s[34:35]
	v_pk_fma_f32 v[124:125], v[14:15], s[2:3], v[120:121] neg_lo:[1,0,0] neg_hi:[1,0,0]
	v_pk_fma_f32 v[126:127], v[14:15], s[2:3], v[120:121]
	v_pk_fma_f32 v[142:143], v[14:15], s[14:15], v[64:65]
	v_mov_b32_e32 v125, v127
	v_pk_add_f32 v[96:97], v[124:125], v[96:97]
	v_pk_mul_f32 v[124:125], v[66:67], s[36:37]
	v_pk_mul_f32 v[66:67], v[66:67], s[42:43]
	v_pk_fma_f32 v[128:129], v[20:21], s[16:17], v[124:125] neg_lo:[1,0,0] neg_hi:[1,0,0]
	v_pk_fma_f32 v[130:131], v[20:21], s[16:17], v[124:125]
	v_pk_fma_f32 v[144:145], v[20:21], s[22:23], v[66:67]
	v_mov_b32_e32 v129, v131
	v_pk_add_f32 v[96:97], v[128:129], v[96:97]
	v_pk_mul_f32 v[128:129], v[56:57], s[42:43]
	v_pk_mul_f32 v[56:57], v[56:57], s[28:29]
	v_pk_fma_f32 v[132:133], v[50:51], s[22:23], v[128:129] neg_lo:[1,0,0] neg_hi:[1,0,0]
	v_pk_fma_f32 v[134:135], v[50:51], s[22:23], v[128:129]
	v_pk_fma_f32 v[146:147], v[50:51], s[12:13], v[56:57]
	v_mov_b32_e32 v133, v135
	v_pk_add_f32 v[96:97], v[132:133], v[96:97]
	v_pk_fma_f32 v[132:133], v[2:3], s[16:17], v[68:69] neg_lo:[1,0,0] neg_hi:[1,0,0]
	v_pk_fma_f32 v[68:69], v[2:3], s[16:17], v[68:69] neg_lo:[0,0,1] neg_hi:[0,0,1]
	v_mov_b32_e32 v133, v137
	v_pk_add_f32 v[132:133], v[0:1], v[132:133]
	v_mov_b32_e32 v137, v69
	v_pk_add_f32 v[132:133], v[138:139], v[132:133]
	v_pk_fma_f32 v[138:139], v[14:15], s[14:15], v[64:65] neg_lo:[1,0,0] neg_hi:[1,0,0]
	v_pk_add_f32 v[62:63], v[0:1], v[136:137]
	v_mov_b32_e32 v139, v143
	v_pk_add_f32 v[132:133], v[138:139], v[132:133]
	v_pk_fma_f32 v[138:139], v[20:21], s[22:23], v[66:67] neg_lo:[1,0,0] neg_hi:[1,0,0]
	v_pk_fma_f32 v[64:65], v[14:15], s[14:15], v[64:65] neg_lo:[0,0,1] neg_hi:[0,0,1]
	v_mov_b32_e32 v139, v145
	v_pk_add_f32 v[62:63], v[140:141], v[62:63]
	v_mov_b32_e32 v143, v65
	v_pk_fma_f32 v[64:65], v[20:21], s[22:23], v[66:67] neg_lo:[0,0,1] neg_hi:[0,0,1]
	v_pk_add_f32 v[132:133], v[138:139], v[132:133]
	v_pk_fma_f32 v[138:139], v[50:51], s[12:13], v[56:57] neg_lo:[1,0,0] neg_hi:[1,0,0]
	v_pk_add_f32 v[62:63], v[142:143], v[62:63]
	v_mov_b32_e32 v145, v65
	v_pk_fma_f32 v[56:57], v[50:51], s[12:13], v[56:57] neg_lo:[0,0,1] neg_hi:[0,0,1]
	v_mov_b32_e32 v139, v147
	v_pk_add_f32 v[62:63], v[144:145], v[62:63]
	v_mov_b32_e32 v147, v57
	v_pk_add_f32 v[56:57], v[146:147], v[62:63]
	v_pk_fma_f32 v[62:63], v[2:3], s[14:15], v[70:71] neg_lo:[0,0,1] neg_hi:[0,0,1]
	v_pk_fma_f32 v[64:65], v[14:15], s[2:3], v[120:121] neg_lo:[0,0,1] neg_hi:[0,0,1]
	v_mov_b32_e32 v115, v63
	v_pk_fma_f32 v[62:63], v[6:7], s[24:25], v[118:119] neg_lo:[0,0,1] neg_hi:[0,0,1]
	v_mov_b32_e32 v127, v65
	v_mov_b32_e32 v123, v63
	v_pk_add_f32 v[62:63], v[0:1], v[114:115]
	v_pk_fma_f32 v[64:65], v[20:21], s[16:17], v[124:125] neg_lo:[0,0,1] neg_hi:[0,0,1]
	v_pk_add_f32 v[62:63], v[122:123], v[62:63]
	v_mov_b32_e32 v131, v65
	v_pk_add_f32 v[62:63], v[126:127], v[62:63]
	v_pk_fma_f32 v[64:65], v[50:51], s[22:23], v[128:129] neg_lo:[0,0,1] neg_hi:[0,0,1]
	v_pk_add_f32 v[62:63], v[130:131], v[62:63]
	v_mov_b32_e32 v135, v65
	v_pk_add_f32 v[62:63], v[134:135], v[62:63]
	ds_write2_b64 v74, v[56:57], v[62:63] offset0:6 offset1:7
	v_pk_fma_f32 v[56:57], v[2:3], s[12:13], v[92:93] neg_lo:[0,0,1] neg_hi:[0,0,1]
	v_pk_fma_f32 v[2:3], v[2:3], s[2:3], v[4:5] neg_lo:[0,0,1] neg_hi:[0,0,1]
	v_mov_b32_e32 v99, v57
	v_pk_fma_f32 v[56:57], v[6:7], s[26:27], v[100:101] neg_lo:[0,0,1] neg_hi:[0,0,1]
	v_pk_fma_f32 v[62:63], v[14:15], s[22:23], v[102:103] neg_lo:[0,0,1] neg_hi:[0,0,1]
	v_mov_b32_e32 v9, v3
	v_pk_fma_f32 v[2:3], v[6:7], s[18:19], v[12:13] neg_lo:[0,0,1] neg_hi:[0,0,1]
	v_mov_b32_e32 v105, v57
	v_pk_add_f32 v[56:57], v[0:1], v[98:99]
	v_mov_b32_e32 v109, v63
	v_pk_fma_f32 v[62:63], v[20:21], s[2:3], v[106:107] neg_lo:[0,0,1] neg_hi:[0,0,1]
	v_pk_add_f32 v[0:1], v[0:1], v[8:9]
	v_mov_b32_e32 v11, v3
	v_pk_fma_f32 v[2:3], v[14:15], s[12:13], v[18:19] neg_lo:[0,0,1] neg_hi:[0,0,1]
	v_mov_b32_e32 v113, v63
	v_pk_fma_f32 v[62:63], v[50:51], s[14:15], v[110:111] neg_lo:[0,0,1] neg_hi:[0,0,1]
	v_pk_add_f32 v[0:1], v[10:11], v[0:1]
	v_mov_b32_e32 v17, v3
	v_pk_fma_f32 v[2:3], v[20:21], s[14:15], v[48:49] neg_lo:[0,0,1] neg_hi:[0,0,1]
	;; [unrolled: 5-line block ×3, first 2 shown]
	v_pk_add_f32 v[56:57], v[104:105], v[56:57]
	v_pk_add_f32 v[58:59], v[82:83], v[58:59]
	v_mov_b32_e32 v87, v63
	v_pk_fma_f32 v[62:63], v[20:21], s[24:25], v[84:85] neg_lo:[0,0,1] neg_hi:[0,0,1]
	v_pk_add_f32 v[0:1], v[22:23], v[0:1]
	v_mov_b32_e32 v53, v3
	v_pk_add_f32 v[56:57], v[108:109], v[56:57]
	v_pk_add_f32 v[58:59], v[86:87], v[58:59]
	v_mov_b32_e32 v91, v63
	v_pk_fma_f32 v[62:63], v[50:51], s[20:21], v[88:89] neg_lo:[0,0,1] neg_hi:[0,0,1]
	v_pk_add_f32 v[0:1], v[52:53], v[0:1]
	v_pk_add_f32 v[56:57], v[112:113], v[56:57]
	;; [unrolled: 1-line block ×3, first 2 shown]
	v_mov_b32_e32 v95, v63
	ds_write_b64 v74, v[0:1] offset:80
	v_mul_u32_u24_e32 v0, 10, v73
	v_pk_add_f32 v[132:133], v[138:139], v[132:133]
	v_pk_add_f32 v[56:57], v[116:117], v[56:57]
	;; [unrolled: 1-line block ×3, first 2 shown]
	v_lshlrev_b32_e32 v20, 3, v0
	ds_write2_b64 v74, v[96:97], v[132:133] offset0:4 offset1:5
	ds_write2_b64 v74, v[56:57], v[58:59] offset0:8 offset1:9
	s_waitcnt lgkmcnt(0)
	s_barrier
	global_load_dwordx4 v[0:3], v20, s[10:11]
	global_load_dwordx4 v[4:7], v20, s[10:11] offset:16
	global_load_dwordx4 v[8:11], v20, s[10:11] offset:32
	;; [unrolled: 1-line block ×4, first 2 shown]
	ds_read2_b64 v[20:23], v72 offset0:22 offset1:33
	ds_read2_b64 v[52:55], v72 offset0:44 offset1:55
	s_mov_b32 s10, s13
	s_load_dwordx2 s[0:1], s[0:1], 0x38
	s_waitcnt vmcnt(4)
	v_mov_b32_e32 v48, v3
	s_waitcnt lgkmcnt(0)
	v_pk_mul_f32 v[50:51], v[20:21], v[48:49] op_sel_hi:[1,0]
	s_waitcnt vmcnt(2)
	v_pk_mul_f32 v[56:57], v[54:55], v[8:9] op_sel:[0,1]
	v_pk_fma_f32 v[62:63], v[20:21], v[2:3], v[50:51] op_sel:[0,0,1] op_sel_hi:[1,1,0] neg_lo:[0,0,1] neg_hi:[0,0,1]
	v_pk_fma_f32 v[50:51], v[20:21], v[2:3], v[50:51] op_sel:[0,0,1] op_sel_hi:[1,0,0]
	v_pk_mul_f32 v[20:21], v[22:23], v[4:5] op_sel:[0,1]
	v_mov_b32_e32 v50, v7
	v_pk_fma_f32 v[64:65], v[22:23], v[4:5], v[20:21] op_sel:[0,0,1] op_sel_hi:[1,1,0] neg_lo:[0,0,1] neg_hi:[0,0,1]
	v_pk_fma_f32 v[66:67], v[22:23], v[4:5], v[20:21] op_sel:[0,0,1] op_sel_hi:[1,0,0]
	v_pk_mul_f32 v[20:21], v[52:53], v[50:51] op_sel_hi:[1,0]
	v_pk_fma_f32 v[70:71], v[54:55], v[8:9], v[56:57] op_sel:[0,0,1] op_sel_hi:[1,1,0] neg_lo:[0,0,1] neg_hi:[0,0,1]
	v_pk_fma_f32 v[68:69], v[52:53], v[6:7], v[20:21] op_sel:[0,0,1] op_sel_hi:[1,1,0] neg_lo:[0,0,1] neg_hi:[0,0,1]
	v_pk_fma_f32 v[52:53], v[52:53], v[6:7], v[20:21] op_sel:[0,0,1] op_sel_hi:[1,0,0]
	ds_read2_b64 v[20:23], v72 offset0:66 offset1:77
	v_mov_b32_e32 v52, v11
	v_pk_fma_f32 v[54:55], v[54:55], v[8:9], v[56:57] op_sel:[0,0,1] op_sel_hi:[1,0,0]
	v_mov_b32_e32 v65, v67
	ds_read_b64 v[66:67], v72 offset:880
	s_waitcnt lgkmcnt(1)
	v_pk_mul_f32 v[56:57], v[20:21], v[52:53] op_sel_hi:[1,0]
	s_waitcnt vmcnt(1)
	v_pk_mul_f32 v[78:79], v[22:23], v[12:13] op_sel:[0,1]
	v_pk_fma_f32 v[76:77], v[20:21], v[10:11], v[56:57] op_sel:[0,0,1] op_sel_hi:[1,1,0] neg_lo:[0,0,1] neg_hi:[0,0,1]
	v_pk_fma_f32 v[20:21], v[20:21], v[10:11], v[56:57] op_sel:[0,0,1] op_sel_hi:[1,0,0]
	ds_read2_b64 v[56:59], v72 offset0:88 offset1:99
	v_pk_fma_f32 v[80:81], v[22:23], v[12:13], v[78:79] op_sel:[0,0,1] op_sel_hi:[1,1,0] neg_lo:[0,0,1] neg_hi:[0,0,1]
	v_pk_fma_f32 v[22:23], v[22:23], v[12:13], v[78:79] op_sel:[0,0,1] op_sel_hi:[1,0,0]
	v_mov_b32_e32 v54, v15
	v_mov_b32_e32 v77, v21
	;; [unrolled: 1-line block ×3, first 2 shown]
	ds_read2_b64 v[20:23], v72 offset1:11
	s_waitcnt lgkmcnt(1)
	v_pk_mul_f32 v[78:79], v[56:57], v[54:55] op_sel_hi:[1,0]
	v_mov_b32_e32 v63, v51
	v_pk_fma_f32 v[82:83], v[56:57], v[14:15], v[78:79] op_sel:[0,0,1] op_sel_hi:[1,1,0] neg_lo:[0,0,1] neg_hi:[0,0,1]
	v_pk_fma_f32 v[56:57], v[56:57], v[14:15], v[78:79] op_sel:[0,0,1] op_sel_hi:[1,0,0]
	s_waitcnt vmcnt(0)
	v_pk_mul_f32 v[78:79], v[58:59], v[16:17] op_sel:[0,1]
	v_mov_b32_e32 v56, v19
	v_pk_fma_f32 v[84:85], v[58:59], v[16:17], v[78:79] op_sel:[0,0,1] op_sel_hi:[1,1,0] neg_lo:[0,0,1] neg_hi:[0,0,1]
	v_pk_fma_f32 v[58:59], v[58:59], v[16:17], v[78:79] op_sel:[0,0,1] op_sel_hi:[1,0,0]
	s_waitcnt lgkmcnt(0)
	v_pk_mul_f32 v[86:87], v[22:23], v[0:1] op_sel:[1,0] op_sel_hi:[0,1]
	v_mov_b32_e32 v85, v59
	v_pk_mul_f32 v[58:59], v[66:67], v[56:57] op_sel_hi:[1,0]
	v_mov_b32_e32 v86, v87
	v_pk_fma_f32 v[78:79], v[66:67], v[18:19], v[58:59] op_sel:[0,0,1] op_sel_hi:[1,0,0] neg_lo:[0,0,1] neg_hi:[0,0,1]
	v_pk_fma_f32 v[58:59], v[66:67], v[18:19], v[58:59] op_sel:[0,0,1] op_sel_hi:[1,0,0]
	v_mov_b32_e32 v66, v1
	v_pk_mul_f32 v[66:67], v[22:23], v[66:67] op_sel:[1,0] op_sel_hi:[0,1]
	v_pk_fma_f32 v[66:67], v[22:23], v[0:1], v[66:67] neg_lo:[0,0,1] neg_hi:[0,0,1]
	v_pk_fma_f32 v[86:87], v[22:23], v[0:1], v[86:87] op_sel:[1,0,0] op_sel_hi:[0,1,1]
	v_mov_b32_e32 v88, v66
	v_mov_b32_e32 v89, v86
	v_pk_add_f32 v[88:89], v[20:21], v[88:89]
	v_mov_b32_e32 v69, v53
	v_pk_add_f32 v[88:89], v[88:89], v[62:63]
	;; [unrolled: 2-line block ×6, first 2 shown]
	v_pk_add_f32 v[90:91], v[66:67], v[78:79]
	v_pk_add_f32 v[88:89], v[88:89], v[80:81]
	v_pk_add_f32 v[66:67], v[66:67], v[78:79] neg_lo:[0,1] neg_hi:[0,1]
	v_pk_add_f32 v[88:89], v[88:89], v[82:83]
	v_mov_b32_e32 v91, v66
	v_pk_add_f32 v[88:89], v[88:89], v[84:85]
	s_nop 0
	v_pk_add_f32 v[88:89], v[88:89], v[22:23]
	v_mov_b32_e32 v23, v86
	v_pk_add_f32 v[22:23], v[22:23], v[58:59]
	s_nop 0
	v_mov_b32_e32 v22, v59
	v_pk_add_f32 v[78:79], v[86:87], v[22:23] neg_lo:[0,1] neg_hi:[0,1]
	v_pk_add_f32 v[86:87], v[62:63], v[84:85]
	v_pk_add_f32 v[62:63], v[62:63], v[84:85] neg_lo:[0,1] neg_hi:[0,1]
	v_mov_b32_e32 v59, v87
	v_mov_b32_e32 v58, v63
	;; [unrolled: 1-line block ×4, first 2 shown]
	v_pk_mul_f32 v[62:63], v[90:91], s[30:31]
	v_pk_add_f32 v[84:85], v[64:65], v[82:83]
	v_pk_add_f32 v[64:65], v[64:65], v[82:83] neg_lo:[0,1] neg_hi:[0,1]
	v_pk_add_f32 v[82:83], v[68:69], v[80:81]
	v_pk_add_f32 v[68:69], v[68:69], v[80:81] neg_lo:[0,1] neg_hi:[0,1]
	;; [unrolled: 2-line block ×3, first 2 shown]
	v_pk_fma_f32 v[66:67], v[78:79], s[2:3], v[62:63] neg_lo:[1,0,0] neg_hi:[1,0,0]
	v_pk_fma_f32 v[76:77], v[22:23], s[2:3], v[62:63]
	v_pk_mul_f32 v[92:93], v[86:87], s[38:39]
	v_mov_b32_e32 v67, v77
	v_pk_fma_f32 v[94:95], v[58:59], s[18:19], v[92:93] neg_lo:[1,0,0] neg_hi:[1,0,0]
	v_pk_fma_f32 v[96:97], v[58:59], s[18:19], v[92:93]
	v_pk_add_f32 v[66:67], v[20:21], v[66:67]
	v_mov_b32_e32 v95, v97
	v_pk_add_f32 v[66:67], v[94:95], v[66:67]
	v_mov_b32_e32 v95, v85
	v_mov_b32_e32 v85, v64
	;; [unrolled: 1-line block ×3, first 2 shown]
	v_pk_mul_f32 v[64:65], v[84:85], s[28:29]
	v_pk_mul_f32 v[110:111], v[86:87], s[34:35]
	v_pk_fma_f32 v[98:99], v[94:95], s[12:13], v[64:65] neg_lo:[1,0,0] neg_hi:[1,0,0]
	v_pk_fma_f32 v[100:101], v[94:95], s[12:13], v[64:65]
	v_pk_fma_f32 v[112:113], v[58:59], s[14:15], v[110:111] neg_lo:[1,0,0] neg_hi:[1,0,0]
	v_mov_b32_e32 v99, v101
	v_pk_add_f32 v[66:67], v[98:99], v[66:67]
	v_mov_b32_e32 v99, v83
	v_mov_b32_e32 v83, v68
	;; [unrolled: 1-line block ×3, first 2 shown]
	v_pk_mul_f32 v[68:69], v[82:83], s[34:35]
	v_pk_fma_f32 v[114:115], v[58:59], s[14:15], v[110:111]
	v_pk_fma_f32 v[102:103], v[98:99], s[14:15], v[68:69] neg_lo:[1,0,0] neg_hi:[1,0,0]
	v_pk_fma_f32 v[104:105], v[98:99], s[14:15], v[68:69]
	v_mov_b32_e32 v113, v115
	v_mov_b32_e32 v103, v105
	v_pk_add_f32 v[66:67], v[102:103], v[66:67]
	v_mov_b32_e32 v103, v81
	v_mov_b32_e32 v81, v70
	;; [unrolled: 1-line block ×3, first 2 shown]
	v_pk_mul_f32 v[70:71], v[80:81], s[36:37]
	v_pk_mul_f32 v[132:133], v[86:87], s[46:47]
	v_pk_fma_f32 v[106:107], v[102:103], s[16:17], v[70:71] neg_lo:[1,0,0] neg_hi:[1,0,0]
	v_pk_fma_f32 v[108:109], v[102:103], s[16:17], v[70:71]
	v_pk_fma_f32 v[134:135], v[58:59], s[26:27], v[132:133] neg_lo:[1,0,0] neg_hi:[1,0,0]
	v_mov_b32_e32 v107, v109
	v_pk_add_f32 v[66:67], v[106:107], v[66:67]
	ds_write2_b64 v72, v[88:89], v[66:67] offset1:11
	v_pk_mul_f32 v[66:67], v[90:91], s[38:39]
	v_pk_fma_f32 v[136:137], v[58:59], s[26:27], v[132:133]
	v_pk_fma_f32 v[88:89], v[78:79], s[18:19], v[66:67] neg_lo:[1,0,0] neg_hi:[1,0,0]
	v_pk_fma_f32 v[106:107], v[22:23], s[18:19], v[66:67]
	v_mov_b32_e32 v135, v137
	v_mov_b32_e32 v89, v107
	v_pk_add_f32 v[88:89], v[20:21], v[88:89]
	v_pk_mul_f32 v[150:151], v[86:87], s[44:45]
	v_pk_add_f32 v[88:89], v[112:113], v[88:89]
	v_pk_mul_f32 v[112:113], v[84:85], s[46:47]
	v_pk_fma_f32 v[152:153], v[58:59], s[24:25], v[150:151] neg_lo:[1,0,0] neg_hi:[1,0,0]
	v_pk_fma_f32 v[116:117], v[94:95], s[26:27], v[112:113] neg_lo:[1,0,0] neg_hi:[1,0,0]
	v_pk_fma_f32 v[118:119], v[94:95], s[26:27], v[112:113]
	v_pk_fma_f32 v[154:155], v[58:59], s[24:25], v[150:151]
	v_mov_b32_e32 v117, v119
	v_pk_add_f32 v[88:89], v[116:117], v[88:89]
	v_pk_mul_f32 v[116:117], v[82:83], s[44:45]
	v_mov_b32_e32 v153, v155
	v_pk_fma_f32 v[120:121], v[98:99], s[24:25], v[116:117] neg_lo:[1,0,0] neg_hi:[1,0,0]
	v_pk_fma_f32 v[122:123], v[98:99], s[24:25], v[116:117]
	v_pk_mul_f32 v[86:87], v[86:87], s[40:41]
	v_mov_b32_e32 v121, v123
	v_pk_add_f32 v[88:89], v[120:121], v[88:89]
	v_pk_mul_f32 v[120:121], v[80:81], s[40:41]
	v_pk_fma_f32 v[168:169], v[58:59], s[20:21], v[86:87] neg_lo:[1,0,0] neg_hi:[1,0,0]
	v_pk_fma_f32 v[124:125], v[102:103], s[20:21], v[120:121] neg_lo:[1,0,0] neg_hi:[1,0,0]
	v_pk_fma_f32 v[126:127], v[102:103], s[20:21], v[120:121]
	v_pk_fma_f32 v[170:171], v[58:59], s[20:21], v[86:87]
	v_mov_b32_e32 v125, v127
	v_pk_add_f32 v[88:89], v[124:125], v[88:89]
	v_pk_mul_f32 v[124:125], v[90:91], s[28:29]
	v_mov_b32_e32 v169, v171
	v_pk_fma_f32 v[128:129], v[78:79], s[12:13], v[124:125] neg_lo:[1,0,0] neg_hi:[1,0,0]
	v_pk_fma_f32 v[130:131], v[22:23], s[12:13], v[124:125]
	v_pk_fma_f32 v[66:67], v[22:23], s[18:19], v[66:67] neg_lo:[0,0,1] neg_hi:[0,0,1]
	v_mov_b32_e32 v129, v131
	v_pk_add_f32 v[128:129], v[20:21], v[128:129]
	v_mov_b32_e32 v107, v67
	v_pk_add_f32 v[128:129], v[134:135], v[128:129]
	v_pk_mul_f32 v[134:135], v[84:85], s[42:43]
	v_pk_fma_f32 v[66:67], v[58:59], s[14:15], v[110:111] neg_lo:[0,0,1] neg_hi:[0,0,1]
	v_pk_fma_f32 v[138:139], v[94:95], s[22:23], v[134:135] neg_lo:[1,0,0] neg_hi:[1,0,0]
	v_pk_fma_f32 v[140:141], v[94:95], s[22:23], v[134:135]
	v_mov_b32_e32 v115, v67
	v_mov_b32_e32 v139, v141
	v_pk_add_f32 v[128:129], v[138:139], v[128:129]
	v_pk_mul_f32 v[138:139], v[82:83], s[30:31]
	v_pk_add_f32 v[66:67], v[20:21], v[106:107]
	v_pk_fma_f32 v[142:143], v[98:99], s[2:3], v[138:139] neg_lo:[1,0,0] neg_hi:[1,0,0]
	v_pk_fma_f32 v[144:145], v[98:99], s[2:3], v[138:139]
	v_pk_add_f32 v[66:67], v[114:115], v[66:67]
	v_mov_b32_e32 v143, v145
	v_pk_add_f32 v[128:129], v[142:143], v[128:129]
	v_pk_mul_f32 v[142:143], v[80:81], s[34:35]
	s_nop 0
	v_pk_fma_f32 v[146:147], v[102:103], s[14:15], v[142:143] neg_lo:[1,0,0] neg_hi:[1,0,0]
	v_pk_fma_f32 v[148:149], v[102:103], s[14:15], v[142:143]
	s_nop 0
	v_mov_b32_e32 v147, v149
	v_pk_add_f32 v[128:129], v[146:147], v[128:129]
	ds_write2_b64 v72, v[88:89], v[128:129] offset0:22 offset1:33
	v_pk_mul_f32 v[88:89], v[90:91], s[34:35]
	v_pk_mul_f32 v[90:91], v[90:91], s[36:37]
	v_pk_fma_f32 v[128:129], v[78:79], s[14:15], v[88:89] neg_lo:[1,0,0] neg_hi:[1,0,0]
	v_pk_fma_f32 v[146:147], v[22:23], s[14:15], v[88:89]
	v_pk_fma_f32 v[78:79], v[78:79], s[16:17], v[90:91] neg_lo:[1,0,0] neg_hi:[1,0,0]
	v_mov_b32_e32 v129, v147
	v_pk_add_f32 v[128:129], v[20:21], v[128:129]
	s_nop 0
	v_pk_add_f32 v[128:129], v[152:153], v[128:129]
	v_pk_mul_f32 v[152:153], v[84:85], s[30:31]
	v_pk_mul_f32 v[84:85], v[84:85], s[34:35]
	v_pk_fma_f32 v[156:157], v[94:95], s[2:3], v[152:153] neg_lo:[1,0,0] neg_hi:[1,0,0]
	v_pk_fma_f32 v[158:159], v[94:95], s[2:3], v[152:153]
	v_pk_fma_f32 v[172:173], v[94:95], s[14:15], v[84:85]
	v_mov_b32_e32 v157, v159
	v_pk_add_f32 v[128:129], v[156:157], v[128:129]
	v_pk_mul_f32 v[156:157], v[82:83], s[36:37]
	v_pk_mul_f32 v[82:83], v[82:83], s[42:43]
	v_pk_fma_f32 v[160:161], v[98:99], s[16:17], v[156:157] neg_lo:[1,0,0] neg_hi:[1,0,0]
	v_pk_fma_f32 v[162:163], v[98:99], s[16:17], v[156:157]
	v_pk_fma_f32 v[174:175], v[98:99], s[22:23], v[82:83]
	v_mov_b32_e32 v161, v163
	;; [unrolled: 7-line block ×3, first 2 shown]
	v_pk_add_f32 v[128:129], v[164:165], v[128:129]
	v_pk_fma_f32 v[164:165], v[22:23], s[16:17], v[90:91]
	s_mov_b32 s28, s3
	v_mov_b32_e32 v79, v165
	v_pk_add_f32 v[78:79], v[20:21], v[78:79]
	s_mov_b32 s30, s15
	v_pk_add_f32 v[78:79], v[168:169], v[78:79]
	v_pk_fma_f32 v[168:169], v[94:95], s[14:15], v[84:85] neg_lo:[1,0,0] neg_hi:[1,0,0]
	v_pk_fma_f32 v[84:85], v[94:95], s[14:15], v[84:85] neg_lo:[0,0,1] neg_hi:[0,0,1]
	v_mov_b32_e32 v169, v173
	v_pk_add_f32 v[78:79], v[168:169], v[78:79]
	v_pk_fma_f32 v[168:169], v[98:99], s[22:23], v[82:83] neg_lo:[1,0,0] neg_hi:[1,0,0]
	v_pk_fma_f32 v[82:83], v[98:99], s[22:23], v[82:83] neg_lo:[0,0,1] neg_hi:[0,0,1]
	v_mov_b32_e32 v169, v175
	;; [unrolled: 4-line block ×3, first 2 shown]
	v_pk_add_f32 v[78:79], v[168:169], v[78:79]
	ds_write2_b64 v72, v[128:129], v[78:79] offset0:44 offset1:55
	v_pk_fma_f32 v[78:79], v[22:23], s[16:17], v[90:91] neg_lo:[0,0,1] neg_hi:[0,0,1]
	v_mov_b32_e32 v177, v81
	v_pk_fma_f32 v[80:81], v[22:23], s[14:15], v[88:89] neg_lo:[0,0,1] neg_hi:[0,0,1]
	v_mov_b32_e32 v165, v79
	v_pk_fma_f32 v[78:79], v[58:59], s[20:21], v[86:87] neg_lo:[0,0,1] neg_hi:[0,0,1]
	v_mov_b32_e32 v147, v81
	v_pk_fma_f32 v[80:81], v[58:59], s[24:25], v[150:151] neg_lo:[0,0,1] neg_hi:[0,0,1]
	v_mov_b32_e32 v171, v79
	v_pk_add_f32 v[78:79], v[20:21], v[164:165]
	v_mov_b32_e32 v175, v83
	v_mov_b32_e32 v155, v81
	v_pk_add_f32 v[80:81], v[20:21], v[146:147]
	v_pk_fma_f32 v[82:83], v[94:95], s[2:3], v[152:153] neg_lo:[0,0,1] neg_hi:[0,0,1]
	v_pk_add_f32 v[78:79], v[170:171], v[78:79]
	v_mov_b32_e32 v173, v85
	v_pk_add_f32 v[80:81], v[154:155], v[80:81]
	v_mov_b32_e32 v159, v83
	v_pk_fma_f32 v[82:83], v[98:99], s[16:17], v[156:157] neg_lo:[0,0,1] neg_hi:[0,0,1]
	v_pk_add_f32 v[78:79], v[172:173], v[78:79]
	v_pk_add_f32 v[80:81], v[158:159], v[80:81]
	v_mov_b32_e32 v163, v83
	v_pk_fma_f32 v[82:83], v[102:103], s[22:23], v[160:161] neg_lo:[0,0,1] neg_hi:[0,0,1]
	v_pk_add_f32 v[78:79], v[174:175], v[78:79]
	v_pk_add_f32 v[80:81], v[162:163], v[80:81]
	v_mov_b32_e32 v167, v83
	v_pk_add_f32 v[78:79], v[176:177], v[78:79]
	v_pk_add_f32 v[80:81], v[166:167], v[80:81]
	ds_write2_b64 v72, v[78:79], v[80:81] offset0:66 offset1:77
	v_pk_fma_f32 v[80:81], v[94:95], s[22:23], v[134:135] neg_lo:[0,0,1] neg_hi:[0,0,1]
	v_pk_fma_f32 v[78:79], v[22:23], s[12:13], v[124:125] neg_lo:[0,0,1] neg_hi:[0,0,1]
	v_mov_b32_e32 v141, v81
	v_pk_fma_f32 v[80:81], v[98:99], s[2:3], v[138:139] neg_lo:[0,0,1] neg_hi:[0,0,1]
	v_pk_fma_f32 v[22:23], v[22:23], s[2:3], v[62:63] neg_lo:[0,0,1] neg_hi:[0,0,1]
	v_mov_b32_e32 v131, v79
	v_pk_fma_f32 v[78:79], v[58:59], s[26:27], v[132:133] neg_lo:[0,0,1] neg_hi:[0,0,1]
	v_mov_b32_e32 v145, v81
	;; [unrolled: 2-line block ×4, first 2 shown]
	v_pk_add_f32 v[78:79], v[20:21], v[130:131]
	v_mov_b32_e32 v149, v81
	v_pk_fma_f32 v[80:81], v[94:95], s[26:27], v[112:113] neg_lo:[0,0,1] neg_hi:[0,0,1]
	v_pk_add_f32 v[20:21], v[20:21], v[76:77]
	v_mov_b32_e32 v97, v23
	v_pk_fma_f32 v[22:23], v[94:95], s[12:13], v[64:65] neg_lo:[0,0,1] neg_hi:[0,0,1]
	;; [unrolled: 3-line block ×4, first 2 shown]
	v_pk_add_f32 v[78:79], v[140:141], v[78:79]
	v_pk_add_f32 v[66:67], v[118:119], v[66:67]
	v_mov_b32_e32 v123, v81
	v_pk_fma_f32 v[80:81], v[102:103], s[20:21], v[120:121] neg_lo:[0,0,1] neg_hi:[0,0,1]
	v_pk_add_f32 v[20:21], v[100:101], v[20:21]
	v_mov_b32_e32 v105, v23
	v_pk_fma_f32 v[22:23], v[102:103], s[16:17], v[70:71] neg_lo:[0,0,1] neg_hi:[0,0,1]
	v_pk_add_f32 v[78:79], v[144:145], v[78:79]
	v_pk_add_f32 v[66:67], v[122:123], v[66:67]
	v_mov_b32_e32 v127, v81
	v_pk_add_f32 v[20:21], v[104:105], v[20:21]
	v_mov_b32_e32 v109, v23
	v_pk_add_f32 v[78:79], v[148:149], v[78:79]
	v_pk_add_f32 v[66:67], v[126:127], v[66:67]
	;; [unrolled: 1-line block ×3, first 2 shown]
	ds_write2_b64 v72, v[78:79], v[66:67] offset0:88 offset1:99
	ds_write_b64 v72, v[20:21] offset:880
	s_waitcnt lgkmcnt(0)
	s_barrier
	global_load_dwordx2 v[58:59], v60, s[8:9] offset:968
	s_add_u32 s8, s8, 0x3c8
	s_addc_u32 s9, s9, 0
	global_load_dwordx2 v[62:63], v60, s[8:9] offset:88
	global_load_dwordx2 v[64:65], v60, s[8:9] offset:176
	;; [unrolled: 1-line block ×10, first 2 shown]
	ds_read2_b64 v[20:23], v72 offset1:11
	s_mov_b32 s8, s19
	s_mov_b32 s34, s17
	s_waitcnt vmcnt(9) lgkmcnt(0)
	v_mul_f32_e32 v89, v22, v63
	v_fmac_f32_e32 v89, v23, v62
	v_mul_f32_e32 v49, v21, v59
	v_mul_f32_e32 v87, v20, v59
	v_fma_f32 v86, v20, v58, -v49
	v_fmac_f32_e32 v87, v21, v58
	ds_read2_b64 v[58:61], v72 offset0:22 offset1:33
	v_mul_f32_e32 v20, v23, v63
	v_fma_f32 v88, v22, v62, -v20
	ds_write2_b64 v72, v[86:87], v[88:89] offset1:11
	s_waitcnt vmcnt(8) lgkmcnt(1)
	v_mul_f32_e32 v20, v59, v65
	v_fma_f32 v62, v58, v64, -v20
	ds_read2_b64 v[20:23], v72 offset0:44 offset1:55
	v_mul_f32_e32 v63, v58, v65
	s_waitcnt vmcnt(7)
	v_mul_f32_e32 v49, v61, v67
	v_mul_f32_e32 v65, v60, v67
	v_fmac_f32_e32 v63, v59, v64
	v_fma_f32 v64, v60, v66, -v49
	v_fmac_f32_e32 v65, v61, v66
	ds_read2_b64 v[58:61], v72 offset0:66 offset1:77
	s_waitcnt vmcnt(6) lgkmcnt(1)
	v_mul_f32_e32 v49, v21, v69
	v_fma_f32 v66, v20, v68, -v49
	v_mul_f32_e32 v67, v20, v69
	s_waitcnt vmcnt(5)
	v_mul_f32_e32 v20, v23, v71
	v_fmac_f32_e32 v67, v21, v68
	v_fma_f32 v68, v22, v70, -v20
	v_mul_f32_e32 v69, v22, v71
	s_waitcnt vmcnt(4) lgkmcnt(0)
	v_mul_f32_e32 v20, v59, v77
	v_fmac_f32_e32 v69, v23, v70
	v_fma_f32 v70, v58, v76, -v20
	ds_read2_b64 v[20:23], v72 offset0:88 offset1:99
	v_mul_f32_e32 v71, v58, v77
	v_fmac_f32_e32 v71, v59, v76
	s_waitcnt vmcnt(3)
	v_mul_f32_e32 v49, v61, v79
	v_mul_f32_e32 v59, v60, v79
	v_fma_f32 v58, v60, v78, -v49
	v_fmac_f32_e32 v59, v61, v78
	s_waitcnt vmcnt(2) lgkmcnt(0)
	v_mul_f32_e32 v49, v21, v81
	v_mul_f32_e32 v61, v20, v81
	v_fma_f32 v60, v20, v80, -v49
	v_fmac_f32_e32 v61, v21, v80
	s_waitcnt vmcnt(1)
	v_mul_f32_e32 v20, v23, v83
	v_mul_f32_e32 v21, v22, v83
	v_fma_f32 v20, v22, v82, -v20
	v_fmac_f32_e32 v21, v23, v82
	ds_read_b64 v[22:23], v72 offset:880
	ds_write2_b64 v72, v[62:63], v[64:65] offset0:22 offset1:33
	ds_write2_b64 v72, v[66:67], v[68:69] offset0:44 offset1:55
	;; [unrolled: 1-line block ×4, first 2 shown]
	s_waitcnt vmcnt(0) lgkmcnt(4)
	v_mul_f32_e32 v20, v23, v85
	v_mul_f32_e32 v21, v22, v85
	v_fma_f32 v20, v22, v84, -v20
	v_fmac_f32_e32 v21, v23, v84
	ds_write_b64 v72, v[20:21] offset:880
	s_waitcnt lgkmcnt(0)
	s_barrier
	ds_read2_b64 v[20:23], v72 offset1:11
	ds_read2_b64 v[58:61], v72 offset0:22 offset1:33
	ds_read2_b64 v[62:65], v72 offset0:44 offset1:55
	;; [unrolled: 1-line block ×4, first 2 shown]
	s_waitcnt lgkmcnt(4)
	v_pk_add_f32 v[70:71], v[20:21], v[22:23]
	s_waitcnt lgkmcnt(1)
	v_pk_add_f32 v[88:89], v[78:79], v[58:59]
	v_pk_add_f32 v[70:71], v[70:71], v[58:59]
	v_pk_add_f32 v[90:91], v[58:59], v[78:79] neg_lo:[0,1] neg_hi:[0,1]
	v_pk_add_f32 v[70:71], v[70:71], v[60:61]
	ds_read_b64 v[58:59], v72 offset:880
	v_pk_add_f32 v[70:71], v[70:71], v[62:63]
	s_waitcnt lgkmcnt(1)
	v_pk_add_f32 v[80:81], v[68:69], v[62:63]
	v_pk_add_f32 v[70:71], v[70:71], v[64:65]
	v_pk_add_f32 v[82:83], v[62:63], v[68:69] neg_lo:[0,1] neg_hi:[0,1]
	v_pk_add_f32 v[62:63], v[70:71], v[66:67]
	v_pk_add_f32 v[92:93], v[76:77], v[60:61]
	;; [unrolled: 1-line block ×3, first 2 shown]
	v_pk_add_f32 v[94:95], v[60:61], v[76:77] neg_lo:[0,1] neg_hi:[0,1]
	v_pk_add_f32 v[60:61], v[62:63], v[76:77]
	s_waitcnt lgkmcnt(0)
	v_pk_add_f32 v[96:97], v[22:23], v[58:59] neg_lo:[0,1] neg_hi:[0,1]
	v_pk_add_f32 v[60:61], v[60:61], v[78:79]
	v_pk_add_f32 v[78:79], v[58:59], v[22:23]
	;; [unrolled: 1-line block ×3, first 2 shown]
	v_pk_mul_f32 v[58:59], v[96:97], s[2:3] op_sel_hi:[1,0]
	v_pk_mul_f32 v[62:63], v[90:91], s[18:19] op_sel_hi:[1,0]
	v_pk_fma_f32 v[22:23], v[78:79], s[28:29], v[58:59] op_sel:[0,0,1] op_sel_hi:[1,0,0]
	v_pk_fma_f32 v[58:59], v[78:79], s[28:29], v[58:59] op_sel:[0,0,1] op_sel_hi:[1,0,0] neg_lo:[0,0,1] neg_hi:[0,0,1]
	v_mov_b32_e32 v60, v22
	v_mov_b32_e32 v61, v59
	v_pk_add_f32 v[84:85], v[66:67], v[64:65]
	v_pk_add_f32 v[86:87], v[64:65], v[66:67] neg_lo:[0,1] neg_hi:[0,1]
	v_pk_add_f32 v[64:65], v[20:21], v[60:61]
	v_pk_fma_f32 v[60:61], v[88:89], s[8:9], v[62:63] op_sel:[0,0,1] op_sel_hi:[1,0,0]
	v_pk_fma_f32 v[62:63], v[88:89], s[8:9], v[62:63] op_sel:[0,0,1] op_sel_hi:[1,0,0] neg_lo:[0,0,1] neg_hi:[0,0,1]
	v_mov_b32_e32 v66, v60
	v_mov_b32_e32 v67, v63
	v_pk_add_f32 v[68:69], v[66:67], v[64:65]
	v_pk_mul_f32 v[66:67], v[94:95], s[12:13] op_sel_hi:[1,0]
	s_nop 0
	v_pk_fma_f32 v[64:65], v[92:93], s[10:11], v[66:67] op_sel:[0,0,1] op_sel_hi:[1,0,0]
	v_pk_fma_f32 v[66:67], v[92:93], s[10:11], v[66:67] op_sel:[0,0,1] op_sel_hi:[1,0,0] neg_lo:[0,0,1] neg_hi:[0,0,1]
	v_mov_b32_e32 v70, v64
	v_mov_b32_e32 v71, v67
	v_pk_add_f32 v[98:99], v[70:71], v[68:69]
	v_pk_mul_f32 v[70:71], v[82:83], s[14:15] op_sel_hi:[1,0]
	s_barrier
	v_pk_fma_f32 v[68:69], v[80:81], s[30:31], v[70:71] op_sel:[0,0,1] op_sel_hi:[1,0,0]
	v_pk_fma_f32 v[70:71], v[80:81], s[30:31], v[70:71] op_sel:[0,0,1] op_sel_hi:[1,0,0] neg_lo:[0,0,1] neg_hi:[0,0,1]
	v_mov_b32_e32 v100, v68
	v_mov_b32_e32 v101, v71
	v_pk_add_f32 v[98:99], v[100:101], v[98:99]
	v_pk_mul_f32 v[100:101], v[86:87], s[16:17] op_sel_hi:[1,0]
	s_nop 0
	v_pk_fma_f32 v[102:103], v[84:85], s[34:35], v[100:101] op_sel:[0,0,1] op_sel_hi:[1,0,0]
	v_pk_fma_f32 v[100:101], v[84:85], s[34:35], v[100:101] op_sel:[0,0,1] op_sel_hi:[1,0,0] neg_lo:[0,0,1] neg_hi:[0,0,1]
	v_mov_b32_e32 v104, v102
	v_mov_b32_e32 v105, v101
	v_pk_add_f32 v[98:99], v[104:105], v[98:99]
	ds_write2_b64 v74, v[76:77], v[98:99] offset1:1
	v_pk_mul_f32 v[76:77], v[96:97], s[18:19] op_sel_hi:[1,0]
	v_pk_mul_f32 v[106:107], v[90:91], s[14:15] op_sel_hi:[1,0]
	v_pk_fma_f32 v[98:99], v[78:79], s[8:9], v[76:77] op_sel:[0,0,1] op_sel_hi:[1,0,0]
	v_pk_fma_f32 v[76:77], v[78:79], s[8:9], v[76:77] op_sel:[0,0,1] op_sel_hi:[1,0,0] neg_lo:[0,0,1] neg_hi:[0,0,1]
	v_mov_b32_e32 v104, v98
	v_mov_b32_e32 v105, v77
	v_pk_fma_f32 v[108:109], v[88:89], s[30:31], v[106:107] op_sel:[0,0,1] op_sel_hi:[1,0,0]
	v_pk_fma_f32 v[106:107], v[88:89], s[30:31], v[106:107] op_sel:[0,0,1] op_sel_hi:[1,0,0] neg_lo:[0,0,1] neg_hi:[0,0,1]
	v_pk_add_f32 v[104:105], v[20:21], v[104:105]
	v_mov_b32_e32 v110, v108
	v_mov_b32_e32 v111, v107
	v_pk_add_f32 v[104:105], v[110:111], v[104:105]
	v_pk_mul_f32 v[110:111], v[94:95], s[26:27] op_sel_hi:[1,0]
	v_pk_mul_f32 v[128:129], v[90:91], s[26:27] op_sel_hi:[1,0]
	v_pk_fma_f32 v[112:113], v[92:93], s[34:35], v[110:111] op_sel:[0,0,1] op_sel_hi:[1,0,0]
	v_pk_fma_f32 v[110:111], v[92:93], s[34:35], v[110:111] op_sel:[0,0,1] op_sel_hi:[1,0,0] neg_lo:[0,0,1] neg_hi:[0,0,1]
	v_mov_b32_e32 v114, v112
	v_mov_b32_e32 v115, v111
	v_pk_add_f32 v[104:105], v[114:115], v[104:105]
	v_pk_mul_f32 v[114:115], v[82:83], s[24:25] op_sel_hi:[1,0]
	v_pk_fma_f32 v[130:131], v[88:89], s[34:35], v[128:129] op_sel:[0,0,1] op_sel_hi:[1,0,0]
	v_pk_fma_f32 v[116:117], v[80:81], s[10:11], v[114:115] op_sel:[0,0,1] op_sel_hi:[1,0,0]
	v_pk_fma_f32 v[114:115], v[80:81], s[10:11], v[114:115] op_sel:[0,0,1] op_sel_hi:[1,0,0] neg_lo:[0,0,1] neg_hi:[0,0,1]
	v_mov_b32_e32 v118, v116
	v_mov_b32_e32 v119, v115
	v_pk_add_f32 v[104:105], v[118:119], v[104:105]
	v_pk_mul_f32 v[118:119], v[86:87], s[20:21] op_sel_hi:[1,0]
	v_pk_fma_f32 v[128:129], v[88:89], s[34:35], v[128:129] op_sel:[0,0,1] op_sel_hi:[1,0,0] neg_lo:[0,0,1] neg_hi:[0,0,1]
	v_pk_fma_f32 v[120:121], v[84:85], s[28:29], v[118:119] op_sel:[0,0,1] op_sel_hi:[1,0,0]
	v_pk_fma_f32 v[118:119], v[84:85], s[28:29], v[118:119] op_sel:[0,0,1] op_sel_hi:[1,0,0] neg_lo:[0,0,1] neg_hi:[0,0,1]
	v_mov_b32_e32 v122, v120
	v_mov_b32_e32 v123, v119
	v_pk_add_f32 v[104:105], v[122:123], v[104:105]
	v_pk_mul_f32 v[122:123], v[96:97], s[12:13] op_sel_hi:[1,0]
	v_mov_b32_e32 v132, v130
	v_pk_fma_f32 v[124:125], v[78:79], s[10:11], v[122:123] op_sel:[0,0,1] op_sel_hi:[1,0,0]
	v_pk_fma_f32 v[122:123], v[78:79], s[10:11], v[122:123] op_sel:[0,0,1] op_sel_hi:[1,0,0] neg_lo:[0,0,1] neg_hi:[0,0,1]
	v_mov_b32_e32 v126, v124
	v_mov_b32_e32 v127, v123
	v_pk_add_f32 v[126:127], v[20:21], v[126:127]
	v_mov_b32_e32 v133, v129
	v_pk_add_f32 v[126:127], v[132:133], v[126:127]
	v_pk_mul_f32 v[132:133], v[94:95], s[22:23] op_sel_hi:[1,0]
	v_pk_mul_f32 v[146:147], v[90:91], s[24:25] op_sel_hi:[1,0]
	v_pk_fma_f32 v[134:135], v[92:93], s[8:9], v[132:133] op_sel:[0,0,1] op_sel_hi:[1,0,0]
	v_pk_fma_f32 v[132:133], v[92:93], s[8:9], v[132:133] op_sel:[0,0,1] op_sel_hi:[1,0,0] neg_lo:[0,0,1] neg_hi:[0,0,1]
	v_mov_b32_e32 v136, v134
	v_mov_b32_e32 v137, v133
	v_pk_add_f32 v[126:127], v[136:137], v[126:127]
	v_pk_mul_f32 v[136:137], v[82:83], s[2:3] op_sel_hi:[1,0]
	v_pk_fma_f32 v[148:149], v[88:89], s[10:11], v[146:147] op_sel:[0,0,1] op_sel_hi:[1,0,0]
	v_pk_fma_f32 v[138:139], v[80:81], s[28:29], v[136:137] op_sel:[0,0,1] op_sel_hi:[1,0,0]
	v_pk_fma_f32 v[136:137], v[80:81], s[28:29], v[136:137] op_sel:[0,0,1] op_sel_hi:[1,0,0] neg_lo:[0,0,1] neg_hi:[0,0,1]
	v_mov_b32_e32 v140, v138
	v_mov_b32_e32 v141, v137
	v_pk_add_f32 v[126:127], v[140:141], v[126:127]
	v_pk_mul_f32 v[140:141], v[86:87], s[14:15] op_sel_hi:[1,0]
	v_pk_fma_f32 v[146:147], v[88:89], s[10:11], v[146:147] op_sel:[0,0,1] op_sel_hi:[1,0,0] neg_lo:[0,0,1] neg_hi:[0,0,1]
	v_pk_fma_f32 v[142:143], v[84:85], s[30:31], v[140:141] op_sel:[0,0,1] op_sel_hi:[1,0,0]
	v_pk_fma_f32 v[140:141], v[84:85], s[30:31], v[140:141] op_sel:[0,0,1] op_sel_hi:[1,0,0] neg_lo:[0,0,1] neg_hi:[0,0,1]
	v_mov_b32_e32 v144, v142
	v_mov_b32_e32 v145, v141
	v_pk_add_f32 v[126:127], v[144:145], v[126:127]
	ds_write2_b64 v74, v[104:105], v[126:127] offset0:2 offset1:3
	v_pk_mul_f32 v[104:105], v[96:97], s[14:15] op_sel_hi:[1,0]
	v_mov_b32_e32 v150, v148
	v_pk_fma_f32 v[126:127], v[78:79], s[30:31], v[104:105] op_sel:[0,0,1] op_sel_hi:[1,0,0]
	v_pk_fma_f32 v[104:105], v[78:79], s[30:31], v[104:105] op_sel:[0,0,1] op_sel_hi:[1,0,0] neg_lo:[0,0,1] neg_hi:[0,0,1]
	v_mov_b32_e32 v144, v126
	v_mov_b32_e32 v145, v105
	v_pk_add_f32 v[144:145], v[20:21], v[144:145]
	v_mov_b32_e32 v151, v147
	v_pk_add_f32 v[144:145], v[150:151], v[144:145]
	v_pk_mul_f32 v[150:151], v[94:95], s[2:3] op_sel_hi:[1,0]
	v_pk_mul_f32 v[96:97], v[96:97], s[16:17] op_sel_hi:[1,0]
	v_pk_fma_f32 v[152:153], v[92:93], s[28:29], v[150:151] op_sel:[0,0,1] op_sel_hi:[1,0,0]
	v_pk_fma_f32 v[150:151], v[92:93], s[28:29], v[150:151] op_sel:[0,0,1] op_sel_hi:[1,0,0] neg_lo:[0,0,1] neg_hi:[0,0,1]
	v_mov_b32_e32 v154, v152
	v_mov_b32_e32 v155, v151
	v_pk_add_f32 v[144:145], v[154:155], v[144:145]
	v_pk_mul_f32 v[154:155], v[82:83], s[16:17] op_sel_hi:[1,0]
	v_pk_mul_f32 v[90:91], v[90:91], s[20:21] op_sel_hi:[1,0]
	v_pk_fma_f32 v[156:157], v[80:81], s[34:35], v[154:155] op_sel:[0,0,1] op_sel_hi:[1,0,0]
	v_pk_fma_f32 v[154:155], v[80:81], s[34:35], v[154:155] op_sel:[0,0,1] op_sel_hi:[1,0,0] neg_lo:[0,0,1] neg_hi:[0,0,1]
	v_mov_b32_e32 v158, v156
	;; [unrolled: 7-line block ×3, first 2 shown]
	v_mov_b32_e32 v163, v159
	v_pk_add_f32 v[144:145], v[162:163], v[144:145]
	v_pk_fma_f32 v[162:163], v[78:79], s[34:35], v[96:97] op_sel:[0,0,1] op_sel_hi:[1,0,0]
	v_pk_fma_f32 v[78:79], v[78:79], s[34:35], v[96:97] op_sel:[0,0,1] op_sel_hi:[1,0,0] neg_lo:[0,0,1] neg_hi:[0,0,1]
	v_pk_fma_f32 v[96:97], v[88:89], s[28:29], v[90:91] op_sel:[0,0,1] op_sel_hi:[1,0,0]
	v_pk_fma_f32 v[88:89], v[88:89], s[28:29], v[90:91] op_sel:[0,0,1] op_sel_hi:[1,0,0] neg_lo:[0,0,1] neg_hi:[0,0,1]
	v_mov_b32_e32 v90, v162
	v_mov_b32_e32 v91, v79
	v_pk_add_f32 v[90:91], v[20:21], v[90:91]
	v_mov_b32_e32 v164, v96
	v_mov_b32_e32 v165, v89
	v_pk_add_f32 v[90:91], v[164:165], v[90:91]
	v_pk_fma_f32 v[164:165], v[92:93], s[30:31], v[94:95] op_sel:[0,0,1] op_sel_hi:[1,0,0]
	v_pk_fma_f32 v[92:93], v[92:93], s[30:31], v[94:95] op_sel:[0,0,1] op_sel_hi:[1,0,0] neg_lo:[0,0,1] neg_hi:[0,0,1]
	v_mov_b32_e32 v79, v163
	v_mov_b32_e32 v94, v164
	;; [unrolled: 1-line block ×3, first 2 shown]
	v_pk_mul_f32 v[82:83], v[82:83], s[22:23] op_sel_hi:[1,0]
	v_mov_b32_e32 v89, v97
	v_pk_add_f32 v[78:79], v[20:21], v[78:79]
	v_pk_add_f32 v[90:91], v[94:95], v[90:91]
	v_pk_fma_f32 v[94:95], v[80:81], s[8:9], v[82:83] op_sel:[0,0,1] op_sel_hi:[1,0,0]
	v_pk_fma_f32 v[80:81], v[80:81], s[8:9], v[82:83] op_sel:[0,0,1] op_sel_hi:[1,0,0] neg_lo:[0,0,1] neg_hi:[0,0,1]
	v_pk_add_f32 v[78:79], v[88:89], v[78:79]
	v_mov_b32_e32 v93, v165
	v_mov_b32_e32 v83, v81
	v_pk_add_f32 v[78:79], v[92:93], v[78:79]
	v_mov_b32_e32 v81, v95
	v_mov_b32_e32 v105, v127
	v_pk_add_f32 v[78:79], v[80:81], v[78:79]
	v_mov_b32_e32 v147, v149
	v_pk_add_f32 v[80:81], v[20:21], v[104:105]
	v_mov_b32_e32 v82, v94
	v_pk_mul_f32 v[86:87], v[86:87], s[12:13] op_sel_hi:[1,0]
	v_pk_add_f32 v[80:81], v[146:147], v[80:81]
	v_mov_b32_e32 v151, v153
	v_pk_add_f32 v[82:83], v[82:83], v[90:91]
	v_pk_fma_f32 v[90:91], v[84:85], s[10:11], v[86:87] op_sel:[0,0,1] op_sel_hi:[1,0,0]
	v_pk_fma_f32 v[84:85], v[84:85], s[10:11], v[86:87] op_sel:[0,0,1] op_sel_hi:[1,0,0] neg_lo:[0,0,1] neg_hi:[0,0,1]
	v_pk_add_f32 v[80:81], v[150:151], v[80:81]
	v_mov_b32_e32 v155, v157
	v_mov_b32_e32 v87, v85
	;; [unrolled: 1-line block ×3, first 2 shown]
	v_pk_add_f32 v[80:81], v[154:155], v[80:81]
	v_mov_b32_e32 v159, v161
	v_pk_add_f32 v[78:79], v[84:85], v[78:79]
	v_pk_add_f32 v[80:81], v[158:159], v[80:81]
	v_mov_b32_e32 v123, v125
	v_mov_b32_e32 v77, v99
	;; [unrolled: 1-line block ×3, first 2 shown]
	ds_write2_b64 v74, v[78:79], v[80:81] offset0:6 offset1:7
	v_mov_b32_e32 v129, v131
	v_pk_add_f32 v[78:79], v[20:21], v[122:123]
	v_mov_b32_e32 v107, v109
	v_pk_add_f32 v[76:77], v[20:21], v[76:77]
	v_pk_add_f32 v[20:21], v[20:21], v[58:59]
	v_mov_b32_e32 v63, v61
	v_pk_add_f32 v[78:79], v[128:129], v[78:79]
	v_mov_b32_e32 v133, v135
	;; [unrolled: 2-line block ×7, first 2 shown]
	v_mov_b32_e32 v86, v90
	v_pk_add_f32 v[78:79], v[136:137], v[78:79]
	v_mov_b32_e32 v141, v143
	v_pk_add_f32 v[76:77], v[114:115], v[76:77]
	;; [unrolled: 2-line block ×4, first 2 shown]
	v_pk_add_f32 v[78:79], v[140:141], v[78:79]
	v_pk_add_f32 v[76:77], v[118:119], v[76:77]
	;; [unrolled: 1-line block ×3, first 2 shown]
	ds_write2_b64 v74, v[144:145], v[82:83] offset0:4 offset1:5
	ds_write2_b64 v74, v[78:79], v[76:77] offset0:8 offset1:9
	ds_write_b64 v74, v[20:21] offset:80
	s_waitcnt lgkmcnt(0)
	s_barrier
	ds_read_b64 v[58:59], v72 offset:880
	ds_read2_b64 v[20:23], v72 offset0:88 offset1:99
	s_waitcnt lgkmcnt(1)
	v_pk_mul_f32 v[56:57], v[56:57], v[58:59] op_sel_hi:[0,1]
	v_pk_fma_f32 v[60:61], v[18:19], v[58:59], v[56:57] op_sel:[0,0,1] op_sel_hi:[1,1,0]
	v_pk_fma_f32 v[18:19], v[18:19], v[58:59], v[56:57] op_sel:[0,0,1] op_sel_hi:[0,1,0] neg_lo:[0,0,1] neg_hi:[0,0,1]
	ds_read2_b64 v[56:59], v72 offset0:66 offset1:77
	s_waitcnt lgkmcnt(1)
	v_pk_mul_f32 v[62:63], v[16:17], v[22:23] op_sel:[1,0]
	v_mov_b32_e32 v61, v19
	v_pk_fma_f32 v[64:65], v[16:17], v[22:23], v[62:63] op_sel:[0,0,1] op_sel_hi:[1,1,0]
	v_pk_fma_f32 v[22:23], v[16:17], v[22:23], v[62:63] op_sel:[0,0,1] op_sel_hi:[0,1,0] neg_lo:[0,0,1] neg_hi:[0,0,1]
	v_pk_mul_f32 v[16:17], v[54:55], v[20:21] op_sel_hi:[0,1]
	v_pk_fma_f32 v[54:55], v[14:15], v[20:21], v[16:17] op_sel:[0,0,1] op_sel_hi:[1,1,0]
	v_pk_fma_f32 v[20:21], v[14:15], v[20:21], v[16:17] op_sel:[0,0,1] op_sel_hi:[0,1,0] neg_lo:[0,0,1] neg_hi:[0,0,1]
	s_waitcnt lgkmcnt(0)
	v_pk_mul_f32 v[62:63], v[12:13], v[58:59] op_sel:[1,0]
	ds_read2_b64 v[14:17], v72 offset0:44 offset1:55
	v_pk_fma_f32 v[66:67], v[12:13], v[58:59], v[62:63] op_sel:[0,0,1] op_sel_hi:[1,1,0]
	v_pk_fma_f32 v[58:59], v[12:13], v[58:59], v[62:63] op_sel:[0,0,1] op_sel_hi:[0,1,0] neg_lo:[0,0,1] neg_hi:[0,0,1]
	v_pk_mul_f32 v[12:13], v[52:53], v[56:57] op_sel_hi:[0,1]
	v_pk_fma_f32 v[52:53], v[10:11], v[56:57], v[12:13] op_sel:[0,0,1] op_sel_hi:[1,1,0]
	v_pk_fma_f32 v[56:57], v[10:11], v[56:57], v[12:13] op_sel:[0,0,1] op_sel_hi:[0,1,0] neg_lo:[0,0,1] neg_hi:[0,0,1]
	ds_read2_b64 v[10:13], v72 offset0:22 offset1:33
	s_waitcnt lgkmcnt(1)
	v_pk_mul_f32 v[62:63], v[8:9], v[16:17] op_sel:[1,0]
	v_mov_b32_e32 v65, v23
	v_pk_fma_f32 v[68:69], v[8:9], v[16:17], v[62:63] op_sel:[0,0,1] op_sel_hi:[1,1,0]
	v_pk_fma_f32 v[8:9], v[8:9], v[16:17], v[62:63] op_sel:[0,0,1] op_sel_hi:[0,1,0] neg_lo:[0,0,1] neg_hi:[0,0,1]
	v_pk_mul_f32 v[16:17], v[50:51], v[14:15] op_sel_hi:[0,1]
	v_pk_fma_f32 v[50:51], v[6:7], v[14:15], v[16:17] op_sel:[0,0,1] op_sel_hi:[1,1,0]
	v_pk_fma_f32 v[6:7], v[6:7], v[14:15], v[16:17] op_sel:[0,0,1] op_sel_hi:[0,1,0] neg_lo:[0,0,1] neg_hi:[0,0,1]
	s_waitcnt lgkmcnt(0)
	v_pk_mul_f32 v[14:15], v[4:5], v[12:13] op_sel:[1,0]
	v_mov_b32_e32 v51, v7
	v_pk_fma_f32 v[16:17], v[4:5], v[12:13], v[14:15] op_sel:[0,0,1] op_sel_hi:[1,1,0]
	v_pk_fma_f32 v[4:5], v[4:5], v[12:13], v[14:15] op_sel:[0,0,1] op_sel_hi:[0,1,0] neg_lo:[0,0,1] neg_hi:[0,0,1]
	v_pk_mul_f32 v[12:13], v[48:49], v[10:11] op_sel_hi:[0,1]
	v_pk_fma_f32 v[14:15], v[2:3], v[10:11], v[12:13] op_sel:[0,0,1] op_sel_hi:[1,1,0]
	v_pk_fma_f32 v[2:3], v[2:3], v[10:11], v[12:13] op_sel:[0,0,1] op_sel_hi:[0,1,0] neg_lo:[0,0,1] neg_hi:[0,0,1]
	v_mov_b32_e32 v15, v3
	v_mov_b32_e32 v17, v5
	ds_read2_b64 v[2:5], v72 offset1:11
	v_mov_b32_e32 v69, v9
	v_pk_add_f32 v[12:13], v[14:15], v[64:65]
	v_mov_b32_e32 v55, v21
	v_mov_b32_e32 v53, v57
	s_waitcnt lgkmcnt(0)
	v_pk_mul_f32 v[6:7], v[0:1], v[4:5] op_sel:[1,0]
	v_mov_b32_e32 v67, v59
	v_pk_fma_f32 v[8:9], v[0:1], v[4:5], v[6:7] op_sel:[0,0,1] op_sel_hi:[1,1,0]
	v_pk_fma_f32 v[0:1], v[0:1], v[4:5], v[6:7] op_sel:[0,0,1] op_sel_hi:[0,1,0] neg_lo:[0,0,1] neg_hi:[0,0,1]
	v_mov_b32_e32 v9, v1
	v_pk_add_f32 v[0:1], v[2:3], v[8:9]
	v_pk_add_f32 v[6:7], v[8:9], v[60:61] neg_lo:[0,1] neg_hi:[0,1]
	v_pk_add_f32 v[0:1], v[0:1], v[14:15]
	v_pk_add_f32 v[4:5], v[8:9], v[60:61]
	;; [unrolled: 1-line block ×3, first 2 shown]
	v_pk_mul_f32 v[8:9], v[6:7], s[2:3] op_sel_hi:[1,0]
	v_pk_add_f32 v[14:15], v[14:15], v[64:65] neg_lo:[0,1] neg_hi:[0,1]
	v_pk_add_f32 v[0:1], v[0:1], v[50:51]
	v_pk_fma_f32 v[10:11], v[4:5], s[28:29], v[8:9] op_sel:[0,0,1] op_sel_hi:[1,0,0]
	v_pk_fma_f32 v[8:9], v[4:5], s[28:29], v[8:9] op_sel:[0,0,1] op_sel_hi:[1,0,0] neg_lo:[0,0,1] neg_hi:[0,0,1]
	v_pk_mul_f32 v[20:21], v[14:15], s[18:19] op_sel_hi:[1,0]
	v_pk_add_f32 v[0:1], v[0:1], v[68:69]
	v_mov_b32_e32 v18, v10
	v_mov_b32_e32 v19, v9
	v_pk_fma_f32 v[22:23], v[12:13], s[8:9], v[20:21] op_sel:[0,0,1] op_sel_hi:[1,0,0]
	v_pk_fma_f32 v[20:21], v[12:13], s[8:9], v[20:21] op_sel:[0,0,1] op_sel_hi:[1,0,0] neg_lo:[0,0,1] neg_hi:[0,0,1]
	v_pk_add_f32 v[0:1], v[0:1], v[52:53]
	v_pk_add_f32 v[18:19], v[2:3], v[18:19]
	v_mov_b32_e32 v48, v22
	v_mov_b32_e32 v49, v21
	v_pk_add_f32 v[0:1], v[0:1], v[66:67]
	v_pk_add_f32 v[18:19], v[48:49], v[18:19]
	;; [unrolled: 1-line block ×3, first 2 shown]
	v_pk_add_f32 v[16:17], v[16:17], v[54:55] neg_lo:[0,1] neg_hi:[0,1]
	v_pk_add_f32 v[0:1], v[0:1], v[54:55]
	v_pk_mul_f32 v[54:55], v[16:17], s[12:13] op_sel_hi:[1,0]
	v_pk_add_f32 v[0:1], v[0:1], v[64:65]
	v_pk_fma_f32 v[56:57], v[48:49], s[10:11], v[54:55] op_sel:[0,0,1] op_sel_hi:[1,0,0]
	v_pk_fma_f32 v[54:55], v[48:49], s[10:11], v[54:55] op_sel:[0,0,1] op_sel_hi:[1,0,0] neg_lo:[0,0,1] neg_hi:[0,0,1]
	v_mov_b32_e32 v58, v56
	v_mov_b32_e32 v59, v55
	v_pk_add_f32 v[18:19], v[58:59], v[18:19]
	v_pk_add_f32 v[58:59], v[50:51], v[66:67]
	v_pk_add_f32 v[50:51], v[50:51], v[66:67] neg_lo:[0,1] neg_hi:[0,1]
	v_pk_add_f32 v[0:1], v[0:1], v[60:61]
	v_pk_mul_f32 v[60:61], v[50:51], s[14:15] op_sel_hi:[1,0]
	v_pk_mul_f32 v[74:75], v[14:15], s[14:15] op_sel_hi:[1,0]
	v_pk_fma_f32 v[62:63], v[58:59], s[30:31], v[60:61] op_sel:[0,0,1] op_sel_hi:[1,0,0]
	v_pk_fma_f32 v[60:61], v[58:59], s[30:31], v[60:61] op_sel:[0,0,1] op_sel_hi:[1,0,0] neg_lo:[0,0,1] neg_hi:[0,0,1]
	v_mov_b32_e32 v64, v62
	v_mov_b32_e32 v65, v61
	v_pk_add_f32 v[18:19], v[64:65], v[18:19]
	v_pk_add_f32 v[64:65], v[68:69], v[52:53]
	v_pk_add_f32 v[52:53], v[68:69], v[52:53] neg_lo:[0,1] neg_hi:[0,1]
	v_pk_fma_f32 v[76:77], v[12:13], s[30:31], v[74:75] op_sel:[0,0,1] op_sel_hi:[1,0,0]
	v_pk_mul_f32 v[66:67], v[52:53], s[16:17] op_sel_hi:[1,0]
	v_pk_fma_f32 v[74:75], v[12:13], s[30:31], v[74:75] op_sel:[0,0,1] op_sel_hi:[1,0,0] neg_lo:[0,0,1] neg_hi:[0,0,1]
	v_pk_fma_f32 v[68:69], v[64:65], s[34:35], v[66:67] op_sel:[0,0,1] op_sel_hi:[1,0,0]
	v_pk_fma_f32 v[66:67], v[64:65], s[34:35], v[66:67] op_sel:[0,0,1] op_sel_hi:[1,0,0] neg_lo:[0,0,1] neg_hi:[0,0,1]
	v_mov_b32_e32 v70, v68
	v_mov_b32_e32 v71, v67
	v_pk_add_f32 v[18:19], v[70:71], v[18:19]
	ds_write2_b64 v72, v[0:1], v[18:19] offset1:11
	v_pk_mul_f32 v[0:1], v[6:7], s[18:19] op_sel_hi:[1,0]
	v_mov_b32_e32 v78, v76
	v_pk_fma_f32 v[18:19], v[4:5], s[8:9], v[0:1] op_sel:[0,0,1] op_sel_hi:[1,0,0]
	v_pk_fma_f32 v[0:1], v[4:5], s[8:9], v[0:1] op_sel:[0,0,1] op_sel_hi:[1,0,0] neg_lo:[0,0,1] neg_hi:[0,0,1]
	v_mov_b32_e32 v70, v18
	v_mov_b32_e32 v71, v1
	v_pk_add_f32 v[70:71], v[2:3], v[70:71]
	v_mov_b32_e32 v79, v75
	v_pk_add_f32 v[70:71], v[78:79], v[70:71]
	v_pk_mul_f32 v[78:79], v[16:17], s[26:27] op_sel_hi:[1,0]
	v_pk_mul_f32 v[96:97], v[14:15], s[26:27] op_sel_hi:[1,0]
	v_pk_fma_f32 v[80:81], v[48:49], s[34:35], v[78:79] op_sel:[0,0,1] op_sel_hi:[1,0,0]
	v_pk_fma_f32 v[78:79], v[48:49], s[34:35], v[78:79] op_sel:[0,0,1] op_sel_hi:[1,0,0] neg_lo:[0,0,1] neg_hi:[0,0,1]
	v_mov_b32_e32 v82, v80
	v_mov_b32_e32 v83, v79
	v_pk_add_f32 v[70:71], v[82:83], v[70:71]
	v_pk_mul_f32 v[82:83], v[50:51], s[24:25] op_sel_hi:[1,0]
	v_pk_fma_f32 v[98:99], v[12:13], s[34:35], v[96:97] op_sel:[0,0,1] op_sel_hi:[1,0,0]
	v_pk_fma_f32 v[84:85], v[58:59], s[10:11], v[82:83] op_sel:[0,0,1] op_sel_hi:[1,0,0]
	v_pk_fma_f32 v[82:83], v[58:59], s[10:11], v[82:83] op_sel:[0,0,1] op_sel_hi:[1,0,0] neg_lo:[0,0,1] neg_hi:[0,0,1]
	v_mov_b32_e32 v86, v84
	v_mov_b32_e32 v87, v83
	v_pk_add_f32 v[70:71], v[86:87], v[70:71]
	v_pk_mul_f32 v[86:87], v[52:53], s[20:21] op_sel_hi:[1,0]
	v_pk_fma_f32 v[96:97], v[12:13], s[34:35], v[96:97] op_sel:[0,0,1] op_sel_hi:[1,0,0] neg_lo:[0,0,1] neg_hi:[0,0,1]
	v_pk_fma_f32 v[88:89], v[64:65], s[28:29], v[86:87] op_sel:[0,0,1] op_sel_hi:[1,0,0]
	v_pk_fma_f32 v[86:87], v[64:65], s[28:29], v[86:87] op_sel:[0,0,1] op_sel_hi:[1,0,0] neg_lo:[0,0,1] neg_hi:[0,0,1]
	v_mov_b32_e32 v90, v88
	v_mov_b32_e32 v91, v87
	v_pk_add_f32 v[70:71], v[90:91], v[70:71]
	v_pk_mul_f32 v[90:91], v[6:7], s[12:13] op_sel_hi:[1,0]
	v_mov_b32_e32 v100, v98
	v_pk_fma_f32 v[92:93], v[4:5], s[10:11], v[90:91] op_sel:[0,0,1] op_sel_hi:[1,0,0]
	v_pk_fma_f32 v[90:91], v[4:5], s[10:11], v[90:91] op_sel:[0,0,1] op_sel_hi:[1,0,0] neg_lo:[0,0,1] neg_hi:[0,0,1]
	v_mov_b32_e32 v94, v92
	v_mov_b32_e32 v95, v91
	v_pk_add_f32 v[94:95], v[2:3], v[94:95]
	v_mov_b32_e32 v101, v97
	v_pk_add_f32 v[94:95], v[100:101], v[94:95]
	v_pk_mul_f32 v[100:101], v[16:17], s[22:23] op_sel_hi:[1,0]
	v_pk_mul_f32 v[114:115], v[14:15], s[24:25] op_sel_hi:[1,0]
	v_pk_fma_f32 v[102:103], v[48:49], s[8:9], v[100:101] op_sel:[0,0,1] op_sel_hi:[1,0,0]
	v_pk_fma_f32 v[100:101], v[48:49], s[8:9], v[100:101] op_sel:[0,0,1] op_sel_hi:[1,0,0] neg_lo:[0,0,1] neg_hi:[0,0,1]
	v_mov_b32_e32 v104, v102
	v_mov_b32_e32 v105, v101
	v_pk_add_f32 v[94:95], v[104:105], v[94:95]
	v_pk_mul_f32 v[104:105], v[50:51], s[2:3] op_sel_hi:[1,0]
	v_pk_fma_f32 v[116:117], v[12:13], s[10:11], v[114:115] op_sel:[0,0,1] op_sel_hi:[1,0,0]
	v_pk_fma_f32 v[106:107], v[58:59], s[28:29], v[104:105] op_sel:[0,0,1] op_sel_hi:[1,0,0]
	v_pk_fma_f32 v[104:105], v[58:59], s[28:29], v[104:105] op_sel:[0,0,1] op_sel_hi:[1,0,0] neg_lo:[0,0,1] neg_hi:[0,0,1]
	v_mov_b32_e32 v108, v106
	v_mov_b32_e32 v109, v105
	v_pk_add_f32 v[94:95], v[108:109], v[94:95]
	v_pk_mul_f32 v[108:109], v[52:53], s[14:15] op_sel_hi:[1,0]
	v_pk_fma_f32 v[114:115], v[12:13], s[10:11], v[114:115] op_sel:[0,0,1] op_sel_hi:[1,0,0] neg_lo:[0,0,1] neg_hi:[0,0,1]
	v_pk_fma_f32 v[110:111], v[64:65], s[30:31], v[108:109] op_sel:[0,0,1] op_sel_hi:[1,0,0]
	v_pk_fma_f32 v[108:109], v[64:65], s[30:31], v[108:109] op_sel:[0,0,1] op_sel_hi:[1,0,0] neg_lo:[0,0,1] neg_hi:[0,0,1]
	v_mov_b32_e32 v112, v110
	v_mov_b32_e32 v113, v109
	v_pk_add_f32 v[94:95], v[112:113], v[94:95]
	ds_write2_b64 v72, v[70:71], v[94:95] offset0:22 offset1:33
	v_pk_mul_f32 v[70:71], v[6:7], s[14:15] op_sel_hi:[1,0]
	v_mov_b32_e32 v118, v116
	v_pk_fma_f32 v[94:95], v[4:5], s[30:31], v[70:71] op_sel:[0,0,1] op_sel_hi:[1,0,0]
	v_pk_fma_f32 v[70:71], v[4:5], s[30:31], v[70:71] op_sel:[0,0,1] op_sel_hi:[1,0,0] neg_lo:[0,0,1] neg_hi:[0,0,1]
	v_mov_b32_e32 v112, v94
	v_mov_b32_e32 v113, v71
	v_pk_add_f32 v[112:113], v[2:3], v[112:113]
	v_mov_b32_e32 v119, v115
	v_pk_add_f32 v[112:113], v[118:119], v[112:113]
	v_pk_mul_f32 v[118:119], v[16:17], s[2:3] op_sel_hi:[1,0]
	v_pk_mul_f32 v[6:7], v[6:7], s[16:17] op_sel_hi:[1,0]
	v_pk_fma_f32 v[120:121], v[48:49], s[28:29], v[118:119] op_sel:[0,0,1] op_sel_hi:[1,0,0]
	v_pk_fma_f32 v[118:119], v[48:49], s[28:29], v[118:119] op_sel:[0,0,1] op_sel_hi:[1,0,0] neg_lo:[0,0,1] neg_hi:[0,0,1]
	v_mov_b32_e32 v122, v120
	v_mov_b32_e32 v123, v119
	v_pk_add_f32 v[112:113], v[122:123], v[112:113]
	v_pk_mul_f32 v[122:123], v[50:51], s[16:17] op_sel_hi:[1,0]
	v_pk_mul_f32 v[16:17], v[16:17], s[14:15] op_sel_hi:[1,0]
	v_pk_fma_f32 v[124:125], v[58:59], s[34:35], v[122:123] op_sel:[0,0,1] op_sel_hi:[1,0,0]
	v_pk_fma_f32 v[122:123], v[58:59], s[34:35], v[122:123] op_sel:[0,0,1] op_sel_hi:[1,0,0] neg_lo:[0,0,1] neg_hi:[0,0,1]
	v_mov_b32_e32 v126, v124
	v_mov_b32_e32 v127, v123
	v_pk_add_f32 v[112:113], v[126:127], v[112:113]
	v_pk_mul_f32 v[126:127], v[52:53], s[22:23] op_sel_hi:[1,0]
	v_mov_b32_e32 v71, v95
	v_pk_fma_f32 v[128:129], v[64:65], s[8:9], v[126:127] op_sel:[0,0,1] op_sel_hi:[1,0,0]
	v_pk_fma_f32 v[126:127], v[64:65], s[8:9], v[126:127] op_sel:[0,0,1] op_sel_hi:[1,0,0] neg_lo:[0,0,1] neg_hi:[0,0,1]
	v_mov_b32_e32 v130, v128
	v_mov_b32_e32 v131, v127
	v_pk_add_f32 v[112:113], v[130:131], v[112:113]
	v_pk_fma_f32 v[130:131], v[4:5], s[34:35], v[6:7] op_sel:[0,0,1] op_sel_hi:[1,0,0]
	v_pk_fma_f32 v[4:5], v[4:5], s[34:35], v[6:7] op_sel:[0,0,1] op_sel_hi:[1,0,0] neg_lo:[0,0,1] neg_hi:[0,0,1]
	v_pk_mul_f32 v[6:7], v[14:15], s[20:21] op_sel_hi:[1,0]
	v_mov_b32_e32 v115, v117
	v_pk_fma_f32 v[14:15], v[12:13], s[28:29], v[6:7] op_sel:[0,0,1] op_sel_hi:[1,0,0]
	v_pk_fma_f32 v[6:7], v[12:13], s[28:29], v[6:7] op_sel:[0,0,1] op_sel_hi:[1,0,0] neg_lo:[0,0,1] neg_hi:[0,0,1]
	v_mov_b32_e32 v12, v130
	v_mov_b32_e32 v13, v5
	v_pk_add_f32 v[12:13], v[2:3], v[12:13]
	v_mov_b32_e32 v132, v14
	v_mov_b32_e32 v133, v7
	v_pk_add_f32 v[12:13], v[132:133], v[12:13]
	v_pk_fma_f32 v[132:133], v[48:49], s[30:31], v[16:17] op_sel:[0,0,1] op_sel_hi:[1,0,0]
	v_pk_fma_f32 v[16:17], v[48:49], s[30:31], v[16:17] op_sel:[0,0,1] op_sel_hi:[1,0,0] neg_lo:[0,0,1] neg_hi:[0,0,1]
	v_mov_b32_e32 v48, v132
	v_mov_b32_e32 v49, v17
	v_mov_b32_e32 v5, v131
	v_pk_add_f32 v[12:13], v[48:49], v[12:13]
	v_pk_mul_f32 v[48:49], v[50:51], s[22:23] op_sel_hi:[1,0]
	v_mov_b32_e32 v7, v15
	v_pk_add_f32 v[4:5], v[2:3], v[4:5]
	v_pk_fma_f32 v[50:51], v[58:59], s[8:9], v[48:49] op_sel:[0,0,1] op_sel_hi:[1,0,0]
	v_pk_fma_f32 v[48:49], v[58:59], s[8:9], v[48:49] op_sel:[0,0,1] op_sel_hi:[1,0,0] neg_lo:[0,0,1] neg_hi:[0,0,1]
	v_pk_add_f32 v[4:5], v[6:7], v[4:5]
	v_pk_add_f32 v[6:7], v[2:3], v[70:71]
	v_mov_b32_e32 v58, v50
	v_mov_b32_e32 v59, v49
	v_pk_mul_f32 v[52:53], v[52:53], s[12:13] op_sel_hi:[1,0]
	v_mov_b32_e32 v17, v133
	v_pk_add_f32 v[6:7], v[114:115], v[6:7]
	v_mov_b32_e32 v119, v121
	v_pk_add_f32 v[12:13], v[58:59], v[12:13]
	v_pk_fma_f32 v[58:59], v[64:65], s[10:11], v[52:53] op_sel:[0,0,1] op_sel_hi:[1,0,0]
	v_pk_fma_f32 v[52:53], v[64:65], s[10:11], v[52:53] op_sel:[0,0,1] op_sel_hi:[1,0,0] neg_lo:[0,0,1] neg_hi:[0,0,1]
	v_pk_add_f32 v[4:5], v[16:17], v[4:5]
	v_mov_b32_e32 v49, v51
	v_pk_add_f32 v[6:7], v[118:119], v[6:7]
	v_mov_b32_e32 v123, v125
	v_mov_b32_e32 v65, v53
	v_pk_add_f32 v[4:5], v[48:49], v[4:5]
	v_mov_b32_e32 v53, v59
	v_pk_add_f32 v[6:7], v[122:123], v[6:7]
	;; [unrolled: 2-line block ×3, first 2 shown]
	v_pk_add_f32 v[6:7], v[126:127], v[6:7]
	v_mov_b32_e32 v91, v93
	v_mov_b32_e32 v1, v19
	ds_write2_b64 v72, v[4:5], v[6:7] offset0:66 offset1:77
	v_mov_b32_e32 v97, v99
	v_pk_add_f32 v[4:5], v[2:3], v[90:91]
	v_mov_b32_e32 v75, v77
	v_pk_add_f32 v[0:1], v[2:3], v[0:1]
	v_pk_add_f32 v[4:5], v[96:97], v[4:5]
	v_mov_b32_e32 v101, v103
	v_pk_add_f32 v[0:1], v[74:75], v[0:1]
	v_mov_b32_e32 v79, v81
	;; [unrolled: 2-line block ×6, first 2 shown]
	v_pk_add_f32 v[4:5], v[108:109], v[4:5]
	v_pk_add_f32 v[0:1], v[86:87], v[0:1]
	v_mov_b32_e32 v9, v11
	ds_write2_b64 v72, v[4:5], v[0:1] offset0:88 offset1:99
	v_pk_add_f32 v[0:1], v[2:3], v[8:9]
	v_mov_b32_e32 v21, v23
	v_pk_add_f32 v[0:1], v[20:21], v[0:1]
	v_mov_b32_e32 v55, v57
	;; [unrolled: 2-line block ×3, first 2 shown]
	v_mov_b32_e32 v64, v58
	v_pk_add_f32 v[0:1], v[60:61], v[0:1]
	v_mov_b32_e32 v67, v69
	v_pk_add_f32 v[12:13], v[64:65], v[12:13]
	v_pk_add_f32 v[0:1], v[66:67], v[0:1]
	ds_write2_b64 v72, v[112:113], v[12:13] offset0:44 offset1:55
	ds_write_b64 v72, v[0:1] offset:880
	s_waitcnt lgkmcnt(0)
	s_barrier
	ds_read2_b64 v[0:3], v72 offset1:11
	v_mov_b32_e32 v6, s0
	v_mov_b32_e32 v7, s1
	v_mad_u64_u32 v[12:13], s[0:1], s6, v30, 0
	v_mov_b32_e32 v4, v13
	v_mad_u64_u32 v[4:5], s[0:1], s7, v30, v[4:5]
	v_mov_b32_e32 v13, v4
	s_waitcnt lgkmcnt(0)
	v_mul_f32_e32 v4, v47, v1
	v_fmac_f32_e32 v4, v46, v0
	v_mul_f32_e32 v0, v47, v0
	s_mov_b32 s0, 0x6be69c90
	v_fma_f32 v0, v46, v1, -v0
	v_cvt_f64_f32_e32 v[4:5], v4
	s_mov_b32 s1, 0x3f80ecf5
	v_cvt_f64_f32_e32 v[0:1], v0
	v_mul_f64 v[4:5], v[4:5], s[0:1]
	v_mul_f64 v[0:1], v[0:1], s[0:1]
	v_cvt_f32_f64_e32 v4, v[4:5]
	v_cvt_f32_f64_e32 v5, v[0:1]
	v_mad_u64_u32 v[0:1], s[2:3], s4, v73, 0
	v_mov_b32_e32 v8, v1
	v_mad_u64_u32 v[8:9], s[2:3], s5, v73, v[8:9]
	v_mov_b32_e32 v1, v8
	v_lshl_add_u64 v[6:7], v[12:13], 3, v[6:7]
	v_lshl_add_u64 v[6:7], v[0:1], 3, v[6:7]
	v_mul_f32_e32 v0, v45, v3
	v_fmac_f32_e32 v0, v44, v2
	v_cvt_f64_f32_e32 v[0:1], v0
	v_mul_f64 v[0:1], v[0:1], s[0:1]
	global_store_dwordx2 v[6:7], v[4:5], off
	v_cvt_f32_f64_e32 v4, v[0:1]
	v_mul_f32_e32 v0, v45, v2
	v_fma_f32 v0, v44, v3, -v0
	v_cvt_f64_f32_e32 v[0:1], v0
	v_mul_f64 v[0:1], v[0:1], s[0:1]
	v_cvt_f32_f64_e32 v5, v[0:1]
	ds_read2_b64 v[0:3], v72 offset0:22 offset1:33
	v_mad_u64_u32 v[6:7], s[2:3], s4, v31, v[6:7]
	s_mulk_i32 s5, 0x58
	v_add_u32_e32 v7, s5, v7
	global_store_dwordx2 v[6:7], v[4:5], off
	s_waitcnt lgkmcnt(0)
	v_mul_f32_e32 v4, v43, v1
	v_fmac_f32_e32 v4, v42, v0
	v_mul_f32_e32 v0, v43, v0
	v_fma_f32 v0, v42, v1, -v0
	v_cvt_f64_f32_e32 v[4:5], v4
	v_cvt_f64_f32_e32 v[0:1], v0
	v_mul_f64 v[4:5], v[4:5], s[0:1]
	v_mul_f64 v[0:1], v[0:1], s[0:1]
	v_cvt_f32_f64_e32 v4, v[4:5]
	v_cvt_f32_f64_e32 v5, v[0:1]
	v_mul_f32_e32 v0, v37, v3
	v_fmac_f32_e32 v0, v36, v2
	v_mad_u64_u32 v[6:7], s[2:3], s4, v31, v[6:7]
	v_cvt_f64_f32_e32 v[0:1], v0
	v_add_u32_e32 v7, s5, v7
	v_mul_f64 v[0:1], v[0:1], s[0:1]
	global_store_dwordx2 v[6:7], v[4:5], off
	v_cvt_f32_f64_e32 v4, v[0:1]
	v_mul_f32_e32 v0, v37, v2
	v_fma_f32 v0, v36, v3, -v0
	v_cvt_f64_f32_e32 v[0:1], v0
	v_mul_f64 v[0:1], v[0:1], s[0:1]
	v_cvt_f32_f64_e32 v5, v[0:1]
	ds_read2_b64 v[0:3], v72 offset0:44 offset1:55
	v_mad_u64_u32 v[6:7], s[2:3], s4, v31, v[6:7]
	v_add_u32_e32 v7, s5, v7
	global_store_dwordx2 v[6:7], v[4:5], off
	s_waitcnt lgkmcnt(0)
	v_mul_f32_e32 v4, v41, v1
	v_fmac_f32_e32 v4, v40, v0
	v_mul_f32_e32 v0, v41, v0
	v_fma_f32 v0, v40, v1, -v0
	v_cvt_f64_f32_e32 v[4:5], v4
	v_cvt_f64_f32_e32 v[0:1], v0
	v_mul_f64 v[4:5], v[4:5], s[0:1]
	v_mul_f64 v[0:1], v[0:1], s[0:1]
	v_cvt_f32_f64_e32 v4, v[4:5]
	v_cvt_f32_f64_e32 v5, v[0:1]
	v_mul_f32_e32 v0, v39, v3
	v_fmac_f32_e32 v0, v38, v2
	v_mad_u64_u32 v[6:7], s[2:3], s4, v31, v[6:7]
	v_cvt_f64_f32_e32 v[0:1], v0
	v_add_u32_e32 v7, s5, v7
	v_mul_f64 v[0:1], v[0:1], s[0:1]
	global_store_dwordx2 v[6:7], v[4:5], off
	v_cvt_f32_f64_e32 v4, v[0:1]
	v_mul_f32_e32 v0, v39, v2
	v_fma_f32 v0, v38, v3, -v0
	v_cvt_f64_f32_e32 v[0:1], v0
	v_mul_f64 v[0:1], v[0:1], s[0:1]
	v_cvt_f32_f64_e32 v5, v[0:1]
	ds_read2_b64 v[0:3], v72 offset0:66 offset1:77
	v_mad_u64_u32 v[6:7], s[2:3], s4, v31, v[6:7]
	;; [unrolled: 28-line block ×3, first 2 shown]
	v_add_u32_e32 v7, s5, v7
	global_store_dwordx2 v[6:7], v[4:5], off
	s_waitcnt lgkmcnt(0)
	v_mul_f32_e32 v4, v29, v1
	v_fmac_f32_e32 v4, v28, v0
	v_mul_f32_e32 v0, v29, v0
	v_fma_f32 v0, v28, v1, -v0
	v_cvt_f64_f32_e32 v[4:5], v4
	v_cvt_f64_f32_e32 v[0:1], v0
	v_mul_f64 v[4:5], v[4:5], s[0:1]
	v_mul_f64 v[0:1], v[0:1], s[0:1]
	v_cvt_f32_f64_e32 v4, v[4:5]
	v_cvt_f32_f64_e32 v5, v[0:1]
	v_mad_u64_u32 v[0:1], s[2:3], s4, v31, v[6:7]
	v_add_u32_e32 v1, s5, v1
	global_store_dwordx2 v[0:1], v[4:5], off
	v_mul_f32_e32 v4, v27, v3
	v_fmac_f32_e32 v4, v26, v2
	v_mul_f32_e32 v2, v27, v2
	v_fma_f32 v2, v26, v3, -v2
	v_cvt_f64_f32_e32 v[4:5], v4
	v_cvt_f64_f32_e32 v[2:3], v2
	v_mul_f64 v[4:5], v[4:5], s[0:1]
	v_mul_f64 v[2:3], v[2:3], s[0:1]
	v_cvt_f32_f64_e32 v4, v[4:5]
	v_cvt_f32_f64_e32 v5, v[2:3]
	ds_read_b64 v[2:3], v72 offset:880
	v_mad_u64_u32 v[0:1], s[2:3], s4, v31, v[0:1]
	v_add_u32_e32 v1, s5, v1
	global_store_dwordx2 v[0:1], v[4:5], off
	s_waitcnt lgkmcnt(0)
	v_mul_f32_e32 v4, v25, v3
	v_fmac_f32_e32 v4, v24, v2
	v_mul_f32_e32 v2, v25, v2
	v_fma_f32 v2, v24, v3, -v2
	v_cvt_f64_f32_e32 v[4:5], v4
	v_cvt_f64_f32_e32 v[2:3], v2
	v_mul_f64 v[4:5], v[4:5], s[0:1]
	v_mul_f64 v[2:3], v[2:3], s[0:1]
	v_mad_u64_u32 v[0:1], s[0:1], s4, v31, v[0:1]
	v_cvt_f32_f64_e32 v4, v[4:5]
	v_cvt_f32_f64_e32 v5, v[2:3]
	v_add_u32_e32 v1, s5, v1
	global_store_dwordx2 v[0:1], v[4:5], off
.LBB0_2:
	s_endpgm
	.section	.rodata,"a",@progbits
	.p2align	6, 0x0
	.amdhsa_kernel bluestein_single_fwd_len121_dim1_sp_op_CI_CI
		.amdhsa_group_segment_fixed_size 10648
		.amdhsa_private_segment_fixed_size 0
		.amdhsa_kernarg_size 104
		.amdhsa_user_sgpr_count 2
		.amdhsa_user_sgpr_dispatch_ptr 0
		.amdhsa_user_sgpr_queue_ptr 0
		.amdhsa_user_sgpr_kernarg_segment_ptr 1
		.amdhsa_user_sgpr_dispatch_id 0
		.amdhsa_user_sgpr_kernarg_preload_length 0
		.amdhsa_user_sgpr_kernarg_preload_offset 0
		.amdhsa_user_sgpr_private_segment_size 0
		.amdhsa_uses_dynamic_stack 0
		.amdhsa_enable_private_segment 0
		.amdhsa_system_sgpr_workgroup_id_x 1
		.amdhsa_system_sgpr_workgroup_id_y 0
		.amdhsa_system_sgpr_workgroup_id_z 0
		.amdhsa_system_sgpr_workgroup_info 0
		.amdhsa_system_vgpr_workitem_id 0
		.amdhsa_next_free_vgpr 178
		.amdhsa_next_free_sgpr 48
		.amdhsa_accum_offset 180
		.amdhsa_reserve_vcc 1
		.amdhsa_float_round_mode_32 0
		.amdhsa_float_round_mode_16_64 0
		.amdhsa_float_denorm_mode_32 3
		.amdhsa_float_denorm_mode_16_64 3
		.amdhsa_dx10_clamp 1
		.amdhsa_ieee_mode 1
		.amdhsa_fp16_overflow 0
		.amdhsa_tg_split 0
		.amdhsa_exception_fp_ieee_invalid_op 0
		.amdhsa_exception_fp_denorm_src 0
		.amdhsa_exception_fp_ieee_div_zero 0
		.amdhsa_exception_fp_ieee_overflow 0
		.amdhsa_exception_fp_ieee_underflow 0
		.amdhsa_exception_fp_ieee_inexact 0
		.amdhsa_exception_int_div_zero 0
	.end_amdhsa_kernel
	.text
.Lfunc_end0:
	.size	bluestein_single_fwd_len121_dim1_sp_op_CI_CI, .Lfunc_end0-bluestein_single_fwd_len121_dim1_sp_op_CI_CI
                                        ; -- End function
	.section	.AMDGPU.csdata,"",@progbits
; Kernel info:
; codeLenInByte = 9872
; NumSgprs: 54
; NumVgprs: 178
; NumAgprs: 0
; TotalNumVgprs: 178
; ScratchSize: 0
; MemoryBound: 0
; FloatMode: 240
; IeeeMode: 1
; LDSByteSize: 10648 bytes/workgroup (compile time only)
; SGPRBlocks: 6
; VGPRBlocks: 22
; NumSGPRsForWavesPerEU: 54
; NumVGPRsForWavesPerEU: 178
; AccumOffset: 180
; Occupancy: 2
; WaveLimiterHint : 1
; COMPUTE_PGM_RSRC2:SCRATCH_EN: 0
; COMPUTE_PGM_RSRC2:USER_SGPR: 2
; COMPUTE_PGM_RSRC2:TRAP_HANDLER: 0
; COMPUTE_PGM_RSRC2:TGID_X_EN: 1
; COMPUTE_PGM_RSRC2:TGID_Y_EN: 0
; COMPUTE_PGM_RSRC2:TGID_Z_EN: 0
; COMPUTE_PGM_RSRC2:TIDIG_COMP_CNT: 0
; COMPUTE_PGM_RSRC3_GFX90A:ACCUM_OFFSET: 44
; COMPUTE_PGM_RSRC3_GFX90A:TG_SPLIT: 0
	.text
	.p2alignl 6, 3212836864
	.fill 256, 4, 3212836864
	.type	__hip_cuid_ea8cf69a20d2e5cb,@object ; @__hip_cuid_ea8cf69a20d2e5cb
	.section	.bss,"aw",@nobits
	.globl	__hip_cuid_ea8cf69a20d2e5cb
__hip_cuid_ea8cf69a20d2e5cb:
	.byte	0                               ; 0x0
	.size	__hip_cuid_ea8cf69a20d2e5cb, 1

	.ident	"AMD clang version 19.0.0git (https://github.com/RadeonOpenCompute/llvm-project roc-6.4.0 25133 c7fe45cf4b819c5991fe208aaa96edf142730f1d)"
	.section	".note.GNU-stack","",@progbits
	.addrsig
	.addrsig_sym __hip_cuid_ea8cf69a20d2e5cb
	.amdgpu_metadata
---
amdhsa.kernels:
  - .agpr_count:     0
    .args:
      - .actual_access:  read_only
        .address_space:  global
        .offset:         0
        .size:           8
        .value_kind:     global_buffer
      - .actual_access:  read_only
        .address_space:  global
        .offset:         8
        .size:           8
        .value_kind:     global_buffer
      - .actual_access:  read_only
        .address_space:  global
        .offset:         16
        .size:           8
        .value_kind:     global_buffer
      - .actual_access:  read_only
        .address_space:  global
        .offset:         24
        .size:           8
        .value_kind:     global_buffer
      - .actual_access:  read_only
        .address_space:  global
        .offset:         32
        .size:           8
        .value_kind:     global_buffer
      - .offset:         40
        .size:           8
        .value_kind:     by_value
      - .address_space:  global
        .offset:         48
        .size:           8
        .value_kind:     global_buffer
      - .address_space:  global
        .offset:         56
        .size:           8
        .value_kind:     global_buffer
      - .address_space:  global
        .offset:         64
        .size:           8
        .value_kind:     global_buffer
      - .address_space:  global
        .offset:         72
        .size:           8
        .value_kind:     global_buffer
      - .offset:         80
        .size:           4
        .value_kind:     by_value
      - .address_space:  global
        .offset:         88
        .size:           8
        .value_kind:     global_buffer
      - .address_space:  global
        .offset:         96
        .size:           8
        .value_kind:     global_buffer
    .group_segment_fixed_size: 10648
    .kernarg_segment_align: 8
    .kernarg_segment_size: 104
    .language:       OpenCL C
    .language_version:
      - 2
      - 0
    .max_flat_workgroup_size: 121
    .name:           bluestein_single_fwd_len121_dim1_sp_op_CI_CI
    .private_segment_fixed_size: 0
    .sgpr_count:     54
    .sgpr_spill_count: 0
    .symbol:         bluestein_single_fwd_len121_dim1_sp_op_CI_CI.kd
    .uniform_work_group_size: 1
    .uses_dynamic_stack: false
    .vgpr_count:     178
    .vgpr_spill_count: 0
    .wavefront_size: 64
amdhsa.target:   amdgcn-amd-amdhsa--gfx950
amdhsa.version:
  - 1
  - 2
...

	.end_amdgpu_metadata
